;; amdgpu-corpus repo=ROCm/aiter kind=harvested arch=n/a opt=n/a

/root/src/amdgpu-assembly/repos/ROCm__aiter/hsa/gfx950/fmoe/gelu/fmoe_bf16_blockscaleBf16_g1u1_vs_1tg_gelu_16x256.co:	file format elf64-amdgpu

Disassembly of section .text:

0000000000002e00 <_ZN5aiter48fmoe_bf16_blockscaleBf16_g1u1_vs_pf2_gelu_16x256E>:
	s_and_b32 s1, s1, 0xffff                                   // 000000002E00: 8601FF01 0000FFFF
	s_load_dwordx2 s[8:9], s[0:1], 0x0                         // 000000002E08: C0060200 00000000
	s_load_dwordx2 s[20:21], s[0:1], 0x10                      // 000000002E10: C0060500 00000010
	s_load_dwordx2 s[24:25], s[0:1], 0x20                      // 000000002E18: C0060600 00000020
	s_load_dwordx2 s[50:51], s[0:1], 0x30                      // 000000002E20: C0060C80 00000030
	s_load_dwordx2 s[12:13], s[0:1], 0x40                      // 000000002E28: C0060300 00000040
	s_load_dwordx2 s[28:29], s[0:1], 0x50                      // 000000002E30: C0060700 00000050
	s_load_dwordx2 s[32:33], s[0:1], 0x60                      // 000000002E38: C0060800 00000060
	s_load_dwordx2 s[16:17], s[0:1], 0x70                      // 000000002E40: C0060400 00000070
	s_load_dwordx2 s[36:37], s[0:1], 0x80                      // 000000002E48: C0060900 00000080
	s_load_dwordx2 s[44:45], s[0:1], 0x90                      // 000000002E50: C0060B00 00000090
	s_load_dwordx2 s[40:41], s[0:1], 0xa0                      // 000000002E58: C0060A00 000000A0
	s_load_dwordx2 s[46:47], s[0:1], 0xb0                      // 000000002E60: C0060B80 000000B0
	s_load_dword s64, s[0:1], 0xc0                             // 000000002E68: C0021000 000000C0
	s_load_dword s65, s[0:1], 0xd0                             // 000000002E70: C0021040 000000D0
	s_load_dword s66, s[0:1], 0xe0                             // 000000002E78: C0021080 000000E0
	s_load_dword s67, s[0:1], 0xf0                             // 000000002E80: C00210C0 000000F0
	s_load_dword s68, s[0:1], 0x100                            // 000000002E88: C0021100 00000100
	s_load_dword s69, s[0:1], 0x110                            // 000000002E90: C0021140 00000110
	s_load_dword s70, s[0:1], 0x120                            // 000000002E98: C0021180 00000120
	s_load_dword s71, s[0:1], 0x130                            // 000000002EA0: C00211C0 00000130
	s_load_dword s72, s[0:1], 0x140                            // 000000002EA8: C0021200 00000140
	s_load_dword s73, s[0:1], 0x150                            // 000000002EB0: C0021240 00000150
	s_load_dword s74, s[0:1], 0x160                            // 000000002EB8: C0021280 00000160
	s_load_dword s75, s[0:1], 0x170                            // 000000002EC0: C00212C0 00000170
	s_load_dword s76, s[0:1], 0x180                            // 000000002EC8: C0021300 00000180
	v_lshrrev_b32_e32 v1, 10, v0                               // 000000002ED0: 2002008A
	v_lshrrev_b32_e32 v2, 10, v1                               // 000000002ED4: 2004028A
	v_and_b32_e32 v2, 0x3ff, v2                                // 000000002ED8: 260404FF 000003FF
	v_and_b32_e32 v1, 0x3ff, v1                                // 000000002EE0: 260202FF 000003FF
	v_and_b32_e32 v0, 0x3ff, v0                                // 000000002EE8: 260000FF 000003FF
	v_lshrrev_b32_e32 v3, 6, v0                                // 000000002EF0: 20060086
	v_and_b32_e32 v0, 63, v0                                   // 000000002EF4: 260000BF
	s_mov_b32 s2, s2                                           // 000000002EF8: BE820002
	s_mov_b32 s3, s3                                           // 000000002EFC: BE830003
	s_mov_b32 s4, s4                                           // 000000002F00: BE840004
	v_readfirstlane_b32 s7, v3                                 // 000000002F04: 7E0E0503
	s_waitcnt lgkmcnt(0)                                       // 000000002F08: BF8CC07F
	s_and_b32 s51, s51, 0xffff                                 // 000000002F0C: 8633FF33 0000FFFF
	s_load_dword s50, s[50:51], 0x0                            // 000000002F14: C0020C99 00000000
	s_and_b32 s45, s45, 0xffff                                 // 000000002F1C: 862DFF2D 0000FFFF
	s_and_b32 s47, s47, 0xffff                                 // 000000002F24: 862FFF2F 0000FFFF
	s_and_b32 s9, s9, 0xffff                                   // 000000002F2C: 8609FF09 0000FFFF
	s_mul_i32 s60, s66, s68                                    // 000000002F34: 923C4442
	s_mul_i32 s61, s66, 4                                      // 000000002F38: 923D8442
	s_mov_b32 s22, s60                                         // 000000002F3C: BE96003C
	s_mov_b32 s26, -16                                         // 000000002F40: BE9A00D0
	s_mov_b32 s14, -16                                         // 000000002F44: BE8E00D0
	s_mov_b32 s42, -16                                         // 000000002F48: BEAA00D0
	s_mov_b32 s30, -16                                         // 000000002F4C: BE9E00D0
	s_mov_b32 s34, -16                                         // 000000002F50: BEA200D0
	s_mov_b32 s38, -16                                         // 000000002F54: BEA600D0
	s_mov_b32 s18, -16                                         // 000000002F58: BE9200D0
	s_mul_i32 s60, s66, s71                                    // 000000002F5C: 923C4742
	s_mov_b32 s10, s60                                         // 000000002F60: BE8A003C
	s_mov_b32 s23, 0x20000                                     // 000000002F64: BE9700FF 00020000
	s_mov_b32 s27, 0x20000                                     // 000000002F6C: BE9B00FF 00020000
	s_mov_b32 s15, 0x20000                                     // 000000002F74: BE8F00FF 00020000
	s_mov_b32 s43, 0x20000                                     // 000000002F7C: BEAB00FF 00020000
	s_mov_b32 s31, 0x20000                                     // 000000002F84: BE9F00FF 00020000
	s_mov_b32 s35, 0x20000                                     // 000000002F8C: BEA300FF 00020000
	s_mov_b32 s39, 0x20000                                     // 000000002F94: BEA700FF 00020000
	s_mov_b32 s19, 0x20000                                     // 000000002F9C: BE9300FF 00020000
	s_mov_b32 s11, 0x20000                                     // 000000002FA4: BE8B00FF 00020000
	s_and_b32 s21, s21, 0xffff                                 // 000000002FAC: 8615FF15 0000FFFF
	s_and_b32 s25, s25, 0xffff                                 // 000000002FB4: 8619FF19 0000FFFF
	s_and_b32 s13, s13, 0xffff                                 // 000000002FBC: 860DFF0D 0000FFFF
	s_and_b32 s41, s41, 0xffff                                 // 000000002FC4: 8629FF29 0000FFFF
	s_and_b32 s29, s29, 0xffff                                 // 000000002FCC: 861DFF1D 0000FFFF
	s_and_b32 s33, s33, 0xffff                                 // 000000002FD4: 8621FF21 0000FFFF
	s_and_b32 s37, s37, 0xffff                                 // 000000002FDC: 8625FF25 0000FFFF
	s_and_b32 s17, s17, 0xffff                                 // 000000002FE4: 8611FF11 0000FFFF
	s_or_b32 s21, s21, 0x40000                                 // 000000002FEC: 8715FF15 00040000
	s_or_b32 s25, s25, 0x40000                                 // 000000002FF4: 8719FF19 00040000
	s_or_b32 s13, s13, 0x40000                                 // 000000002FFC: 870DFF0D 00040000
	s_or_b32 s41, s41, 0x40000                                 // 000000003004: 8729FF29 00040000
	s_or_b32 s29, s29, 0x40000                                 // 00000000300C: 871DFF1D 00040000
	s_or_b32 s33, s33, 0x40000                                 // 000000003014: 8721FF21 00040000
	s_or_b32 s37, s37, 0x40000                                 // 00000000301C: 8725FF25 00040000
	s_or_b32 s17, s17, 0x40000                                 // 000000003024: 8711FF11 00040000
	v_accvgpr_write_b32 a255, 0                                // 00000000302C: D3D940FF 18000080
	v_mov_b32_e32 v191, 0                                      // 000000003034: 7F7E0280
	s_waitcnt lgkmcnt(0)                                       // 000000003038: BF8CC07F
	s_mul_i32 s60, s3, 16                                      // 00000000303C: 923C9003
	s_cmp_lt_i32 s60, s50                                      // 000000003040: BF04323C
	s_cbranch_scc0 label_17A3                                  // 000000003044: BF841711
	s_lshr_b32 s60, s7, 1                                      // 000000003048: 8F3C8107
	s_lshl_b32 s60, s60, 3                                     // 00000000304C: 8E3C833C
	s_and_b32 s61, s7, 1                                       // 000000003050: 863D8107
	s_lshl_b32 s61, s61, 1                                     // 000000003054: 8E3D813D
	s_or_b32 s60, s60, s61                                     // 000000003058: 873C3D3C
	v_lshrrev_b32_e32 v46, 3, v0                               // 00000000305C: 205C0083
	v_and_b32_e32 v47, 2, v46                                  // 000000003060: 265E5C82
	v_lshlrev_b32_e32 v47, 1, v47                              // 000000003064: 245E5E81
	v_and_b32_e32 v48, 1, v46                                  // 000000003068: 26605C81
	v_or_b32_e32 v47, v47, v48                                 // 00000000306C: 285E612F
	v_add_u32_e32 v47, s60, v47                                // 000000003070: 685E5E3C
	v_and_b32_e32 v48, 3, v0                                   // 000000003074: 26600083
	v_lshlrev_b32_e32 v48, 4, v48                              // 000000003078: 24606084
	v_add_u32_e32 v47, v47, v48                                // 00000000307C: 685E612F
	v_lshrrev_b32_e32 v46, 5, v0                               // 000000003080: 205C0085
	v_lshlrev_b32_e32 v46, 8, v46                              // 000000003084: 245C5C88
	v_lshlrev_b32_e32 v47, 2, v47                              // 000000003088: 245E5E82
	v_add_u32_e32 v30, v46, v47                                // 00000000308C: 683C5F2E
	s_mov_b32 s80, 0                                           // 000000003090: BED00080
	s_mov_b32 s81, s64                                         // 000000003094: BED10040
	s_mul_i32 s60, s3, 4                                       // 000000003098: 923C8403
	s_add_u32 s46, s60, s46                                    // 00000000309C: 802E2E3C
	s_addc_u32 s47, 0, s47                                     // 0000000030A0: 822F2F80
	s_load_dword s5, s[46:47], 0x0                             // 0000000030A4: C0020157 00000000
	s_mul_i32 s60, s3, 16                                      // 0000000030AC: 923C9003
	s_mul_i32 s60, 4, s60                                      // 0000000030B0: 923C3C84
	v_and_b32_e32 v46, 15, v0                                  // 0000000030B4: 265C008F
	v_lshlrev_b32_e32 v46, 2, v46                              // 0000000030B8: 245C5C82
	v_add_u32_e32 v46, s60, v46                                // 0000000030BC: 685C5C3C
	v_mov_b32_e32 v47, 0                                       // 0000000030C0: 7E5E0280
	global_load_dword v7, v46, s[44:45]                        // 0000000030C4: DC508000 072C002E
	s_mul_i32 s60, s3, 16                                      // 0000000030CC: 923C9003
	s_lshr_b32 s61, s7, 1                                      // 0000000030D0: 8F3D8107
	s_mul_i32 s61, s61, 8                                      // 0000000030D4: 923D883D
	s_add_u32 s60, s61, s60                                    // 0000000030D8: 803C3C3D
	s_and_b32 s61, s7, 1                                       // 0000000030DC: 863D8107
	s_mul_i32 s61, s61, 2                                      // 0000000030E0: 923D823D
	s_add_u32 s60, s61, s60                                    // 0000000030E4: 803C3C3D
	s_mul_i32 s60, 4, s60                                      // 0000000030E8: 923C3C84
	s_add_u32 s44, s60, s44                                    // 0000000030EC: 802C2C3C
	s_addc_u32 s45, 0, s45                                     // 0000000030F0: 822D2D80
	s_load_dword s82, s[44:45], 0x0                            // 0000000030F4: C0021496 00000000
	s_load_dword s83, s[44:45], 0x4                            // 0000000030FC: C00214D6 00000004
	s_load_dword s84, s[44:45], 0x10                           // 000000003104: C0021516 00000010
	s_load_dword s85, s[44:45], 0x14                           // 00000000310C: C0021556 00000014
	s_waitcnt lgkmcnt(0)                                       // 000000003114: BF8CC07F
	s_and_b32 s82, s82, 0xffffff                               // 000000003118: 8652FF52 00FFFFFF
	s_mul_i32 s62, s82, s68                                    // 000000003120: 923E4452
	s_lshl_b32 s60, 0xff, 0                                    // 000000003124: 8E3C80FF 000000FF
	s_mov_b32 s61, 0                                           // 00000000312C: BEBD0080
	s_lshl_b32 s61, 0xff, 0                                    // 000000003130: 8E3D80FF 000000FF
	s_mov_b64 exec, s[60:61]                                   // 000000003138: BEFE013C
	v_mov_b32_e32 v31, s62                                     // 00000000313C: 7E3E023E
	s_and_b32 s83, s83, 0xffffff                               // 000000003140: 8653FF53 00FFFFFF
	s_mul_i32 s62, s83, s68                                    // 000000003148: 923E4453
	s_lshl_b32 s60, 0xff, 8                                    // 00000000314C: 8E3C88FF 000000FF
	s_lshl_b32 s61, 0xff, 8                                    // 000000003154: 8E3D88FF 000000FF
	s_mov_b64 exec, s[60:61]                                   // 00000000315C: BEFE013C
	v_mov_b32_e32 v31, s62                                     // 000000003160: 7E3E023E
	s_and_b32 s84, s84, 0xffffff                               // 000000003164: 8654FF54 00FFFFFF
	s_mul_i32 s62, s84, s68                                    // 00000000316C: 923E4454
	s_lshl_b32 s60, 0xff, 16                                   // 000000003170: 8E3C90FF 000000FF
	s_lshl_b32 s61, 0xff, 16                                   // 000000003178: 8E3D90FF 000000FF
	s_mov_b64 exec, s[60:61]                                   // 000000003180: BEFE013C
	v_mov_b32_e32 v31, s62                                     // 000000003184: 7E3E023E
	s_and_b32 s85, s85, 0xffffff                               // 000000003188: 8655FF55 00FFFFFF
	s_mul_i32 s62, s85, s68                                    // 000000003190: 923E4455
	s_lshl_b32 s60, 0xff, 24                                   // 000000003194: 8E3C98FF 000000FF
	s_lshl_b32 s61, 0xff, 24                                   // 00000000319C: 8E3D98FF 000000FF
	s_mov_b64 exec, s[60:61]                                   // 0000000031A4: BEFE013C
	v_mov_b32_e32 v31, s62                                     // 0000000031A8: 7E3E023E
	s_mov_b32 s60, -1                                          // 0000000031AC: BEBC00C1
	s_mov_b32 s61, -1                                          // 0000000031B0: BEBD00C1
	s_mov_b64 exec, s[60:61]                                   // 0000000031B4: BEFE013C
	v_and_b32_e64 v46, v0, 7                                   // 0000000031B8: D113002E 00010F00
	v_lshlrev_b32_e32 v46, 5, v46                              // 0000000031C0: 245C5C85
	v_add_u32_e32 v31, v31, v46                                // 0000000031C4: 683E5D1F
	s_mov_b32 s62, 0x100                                       // 0000000031C8: BEBE00FF 00000100
	s_mov_b32 s60, 0                                           // 0000000031D0: BEBC0080
	s_mov_b32 s61, -1                                          // 0000000031D4: BEBD00C1
	s_mov_b64 exec, s[60:61]                                   // 0000000031D8: BEFE013C
	v_add_u32_e64 v31, v31, s62                                // 0000000031DC: D134001F 00007D1F
	s_mov_b64 exec, -1                                         // 0000000031E4: BEFE01C1
	v_lshlrev_b32_e32 v46, 2, v0                               // 0000000031E8: 245C0082
	s_mul_i32 s60, s82, s71                                    // 0000000031EC: 923C4752
	v_add_u32_e64 v80, v46, s60                                // 0000000031F0: D1340050 0000792E
	v_mov_b32_e32 v81, 0                                       // 0000000031F8: 7EA20280
	s_mul_i32 s60, s83, s71                                    // 0000000031FC: 923C4753
	v_add_u32_e64 v82, v46, s60                                // 000000003200: D1340052 0000792E
	v_mov_b32_e32 v83, 0                                       // 000000003208: 7EA60280
	s_mul_i32 s60, s84, s71                                    // 00000000320C: 923C4754
	v_add_u32_e64 v84, v46, s60                                // 000000003210: D1340054 0000792E
	v_mov_b32_e32 v85, 0                                       // 000000003218: 7EAA0280
	s_mul_i32 s60, s85, s71                                    // 00000000321C: 923C4755
	v_add_u32_e64 v86, v46, s60                                // 000000003220: D1340056 0000792E
	v_mov_b32_e32 v87, 0                                       // 000000003228: 7EAE0280
	s_mul_i32 s60, s7, 0x420                                   // 00000000322C: 923CFF07 00000420
	s_add_u32 s50, 0, s60                                      // 000000003234: 80323C80
	s_add_u32 s51, 0x1500, s50                                 // 000000003238: 803332FF 00001500
	v_and_b32_e32 v46, 15, v0                                  // 000000003240: 265C008F
	v_lshrrev_b32_e32 v47, 3, v46                              // 000000003244: 205E5C83
	v_mul_lo_u32 v47, 2, v47                                   // 000000003248: D285002F 00025E82
	v_and_b32_e32 v46, 3, v0                                   // 000000003250: 265C0083
	v_lshrrev_b32_e32 v48, 1, v46                              // 000000003254: 20605C81
	v_add_u32_e32 v46, v47, v48                                // 000000003258: 685C612F
	v_mul_i32_i24_e32 v2, 0x420, v46                           // 00000000325C: 0C045CFF 00000420
	v_and_b32_e32 v46, 7, v0                                   // 000000003264: 265C0087
	v_lshrrev_b32_e32 v47, 2, v46                              // 000000003268: 205E5C82
	v_mul_i32_i24_e32 v47, 0x100, v47                          // 00000000326C: 0C5E5EFF 00000100
	v_and_b32_e32 v46, 1, v0                                   // 000000003274: 265C0081
	v_mul_i32_i24_e32 v48, 0x80, v46                           // 000000003278: 0C605CFF 00000080
	v_add_u32_e32 v2, v47, v2                                  // 000000003280: 6804052F
	v_add_u32_e32 v2, v48, v2                                  // 000000003284: 68040530
	v_lshrrev_b32_e32 v46, 4, v0                               // 000000003288: 205C0084
	v_mul_lo_u32 v46, 16, v46                                  // 00000000328C: D285002E 00025C90
	v_add_u32_e32 v2, v46, v2                                  // 000000003294: 6804052E
	s_mul_i32 s60, s2, 0x100                                   // 000000003298: 923CFF02 00000100
	s_mul_i32 s60, s60, s69                                    // 0000000032A0: 923C453C
	s_mul_i32 s61, s5, s72                                     // 0000000032A4: 923D4805
	s_add_u32 s60, s61, s60                                    // 0000000032A8: 803C3C3D
	s_add_u32 s24, s60, s24                                    // 0000000032AC: 8018183C
	s_addc_u32 s25, 0, s25                                     // 0000000032B0: 82191980
	s_mul_i32 s60, s7, 16                                      // 0000000032B4: 923C9007
	s_mul_i32 s60, s60, s69                                    // 0000000032B8: 923C453C
	v_lshlrev_b32_e32 v33, 4, v0                               // 0000000032BC: 24420084
	v_add_u32_e32 v33, s60, v33                                // 0000000032C0: 6842423C
	s_mul_i32 s60, 64, s69                                     // 0000000032C4: 923C45C0
	v_add_u32_e32 v34, s60, v33                                // 0000000032C8: 6844423C
	v_add_u32_e32 v35, s60, v34                                // 0000000032CC: 6846443C
	v_add_u32_e32 v36, s60, v35                                // 0000000032D0: 6848463C
	s_mov_b32 s92, s24                                         // 0000000032D4: BEDC0018
	s_mov_b32 s93, s25                                         // 0000000032D8: BEDD0019
	s_mov_b32 s94, s26                                         // 0000000032DC: BEDE001A
	s_mov_b32 s95, s27                                         // 0000000032E0: BEDF001B
	s_mul_i32 s60, s69, s65                                    // 0000000032E4: 923C4145
	s_add_u32 s92, s60, s92                                    // 0000000032E8: 805C5C3C
	s_addc_u32 s93, 0, s93                                     // 0000000032EC: 825D5D80
	s_mul_i32 s60, s2, 0x1000                                  // 0000000032F0: 923CFF02 00001000
	s_mul_i32 s61, s5, s73                                     // 0000000032F8: 923D4905
	s_add_u32 s60, s61, s60                                    // 0000000032FC: 803C3C3D
	s_add_u32 s12, s60, s12                                    // 000000003300: 800C0C3C
	s_addc_u32 s13, 0, s13                                     // 000000003304: 820D0D80
	s_mul_i32 s60, s7, 16                                      // 000000003308: 923C9007
	s_mul_i32 s60, s60, s70                                    // 00000000330C: 923C463C
	v_lshlrev_b32_e32 v37, 4, v0                               // 000000003310: 244A0084
	v_add_u32_e32 v37, s60, v37                                // 000000003314: 684A4A3C
	s_mul_i32 s60, 64, s70                                     // 000000003318: 923C46C0
	v_add_u32_e32 v38, s60, v37                                // 00000000331C: 684C4A3C
	v_add_u32_e32 v39, s60, v38                                // 000000003320: 684E4C3C
	v_add_u32_e32 v40, s60, v39                                // 000000003324: 68504E3C
	s_mul_i32 s60, s70, 0x100                                  // 000000003328: 923CFF46 00000100
	s_mov_b32 s78, 0x800                                       // 000000003330: BECE00FF 00000800
	s_mul_i32 s61, s78, 1                                      // 000000003338: 923D814E
	s_sub_u32 s56, s60, s61                                    // 00000000333C: 80B83D3C
	s_mul_i32 s60, s3, 16                                      // 000000003340: 923C9003
	s_mul_i32 s60, 4, s60                                      // 000000003344: 923C3C84
	s_add_u32 s40, s60, s40                                    // 000000003348: 8028283C
	s_addc_u32 s41, 0, s41                                     // 00000000334C: 82292980
	v_and_b32_e32 v46, 15, v0                                  // 000000003350: 265C008F
	v_lshlrev_b32_e32 v9, 2, v46                               // 000000003354: 24125C82
	v_add_u32_e32 v10, 64, v9                                  // 000000003358: 681412C0
	s_lshr_b32 s60, s64, 7                                     // 00000000335C: 8F3C8740
	s_mul_i32 s61, s60, 4                                      // 000000003360: 923D843C
	v_and_b32_e64 v11, v0, 1                                   // 000000003364: D113000B 00010300
	v_mul_lo_u32 v11, v11, s61                                 // 00000000336C: D285000B 00007B0B
	v_and_b32_e64 v46, v0, 3                                   // 000000003374: D113002E 00010700
	v_lshrrev_b32_e32 v46, 1, v46                              // 00000000337C: 205C5C81
	v_mul_lo_u32 v46, 4, v46                                   // 000000003380: D285002E 00025C84
	v_add_u32_e32 v11, v11, v46                                // 000000003388: 68165D0B
	s_lshr_b32 s60, s65, 7                                     // 00000000338C: 8F3C8741
	s_mul_i32 s60, s60, s61                                    // 000000003390: 923C3D3C
	v_add_u32_e64 v13, v11, s60                                // 000000003394: D134000D 0000790B
	s_mov_b32 s4, 8                                            // 00000000339C: BE840088
	s_mul_i32 s60, s2, 2                                       // 0000000033A0: 923C8202
	s_mul_i32 s60, s60, s61                                    // 0000000033A4: 923C3D3C
	s_mul_i32 s61, s5, s74                                     // 0000000033A8: 923D4A05
	s_add_u32 s61, s61, s60                                    // 0000000033AC: 803D3C3D
	s_add_u32 s32, s61, s32                                    // 0000000033B0: 8020203D
	s_addc_u32 s33, 0, s33                                     // 0000000033B4: 82212180
	s_lshr_b32 s60, s65, 7                                     // 0000000033B8: 8F3C8741
	s_mul_i32 s61, s60, 4                                      // 0000000033BC: 923D843C
	s_mul_i32 s60, s2, 2                                       // 0000000033C0: 923C8202
	s_mul_i32 s60, s60, 4                                      // 0000000033C4: 923C843C
	v_and_b32_e64 v6, v0, 1                                    // 0000000033C8: D1130006 00010300
	v_mul_lo_u32 v6, v6, s61                                   // 0000000033D0: D2850006 00007B06
	v_and_b32_e64 v46, v0, 3                                   // 0000000033D8: D113002E 00010700
	v_lshrrev_b32_e32 v46, 1, v46                              // 0000000033E0: 205C5C81
	v_mul_lo_u32 v46, 4, v46                                   // 0000000033E4: D285002E 00025C84
	v_add_i32 v6, v6, v46                                      // 0000000033EC: D29C0006 00025D06
	v_add_i32 v6, v6, s60                                      // 0000000033F4: D29C0006 00007906
	s_mul_i32 s60, s5, s75                                     // 0000000033FC: 923C4B05
	s_add_u32 s16, s60, s16                                    // 000000003400: 8010103C
	s_addc_u32 s17, 0, s17                                     // 000000003404: 82111180
	s_mov_b32 s57, 0x200                                       // 000000003408: BEB900FF 00000200
	s_mov_b32 s58, 0x1000                                      // 000000003410: BEBA00FF 00001000
	s_mul_i32 s79, 2, s61                                      // 000000003418: 924F3D82
	s_mov_b32 s59, 0                                           // 00000000341C: BEBB0080
	s_mov_b32 s90, s58                                         // 000000003420: BEDA003A
	s_mov_b32 s53, 0x7060302                                   // 000000003424: BEB500FF 07060302
	s_mov_b32 s54, 0x400                                       // 00000000342C: BEB600FF 00000400
	s_mov_b32 s55, 0x40100                                     // 000000003434: BEB700FF 00040100
	s_mov_b32 s63, 0x4020100                                   // 00000000343C: BEBF00FF 04020100
	s_mov_b32 s6, 0x3fb8aa3b                                   // 000000003444: BE8600FF 3FB8AA3B
	s_mov_b32 s77, 0xbd92220c                                  // 00000000344C: BECD00FF BD92220C
	s_mov_b32 m0, s50                                          // 000000003454: BEFC0032
	v_mov_b32_e32 v1, 0xbfcc4231                               // 000000003458: 7E0202FF BFCC4231
	v_mov_b32_e32 v42, 0xffff0000                              // 000000003460: 7E5402FF FFFF0000
	v_mov_b32_e32 v43, 0x7fff0000                              // 000000003468: 7E5602FF 7FFF0000
	v_mov_b32_e32 v44, 0x7fff                                  // 000000003470: 7E5802FF 00007FFF
	s_waitcnt vmcnt(0) expcnt(0) lgkmcnt(0)                    // 000000003478: BF8C0000
	v_and_b32_e32 v7, 0xffffff, v7                             // 00000000347C: 260E0EFF 00FFFFFF
	v_and_b32_e32 v8, 0xffffff, v8                             // 000000003484: 261010FF 00FFFFFF
	v_lshlrev_b32_e32 v7, 2, v7                                // 00000000348C: 240E0E82
	v_lshlrev_b32_e32 v8, 2, v8                                // 000000003490: 24101082
	v_lshlrev_b32_e32 v3, 2, v0                                // 000000003494: 24060082
	buffer_load_dword v23, v9, s[40:43], 0 offen               // 000000003498: E0501000 800A1709
	buffer_load_dword v24, v10, s[40:43], 0 offen              // 0000000034A0: E0501000 800A180A
	buffer_load_dwordx4 v[160:163], v31, s[20:23], 0 offen     // 0000000034A8: E05C1000 8005A01F
	buffer_load_dwordx4 v[164:167], v31, s[20:23], 0 offen offset:16// 0000000034B0: E05C1010 8005A41F
	s_add_u32 s20, s57, s20                                    // 0000000034B8: 80141439
	s_addc_u32 s21, 0, s21                                     // 0000000034BC: 82151580
	buffer_load_dword v19, v11, s[32:35], 0 offen              // 0000000034C0: E0501000 8008130B
	buffer_load_dword v21, v13, s[32:35], 0 offen              // 0000000034C8: E0501000 8008150D
	s_add_u32 s60, 0x100, s80                                  // 0000000034D0: 803C50FF 00000100
	s_cmp_lt_u32 s60, s81                                      // 0000000034D8: BF0A513C
	s_cselect_b32 s4, s4, 0                                    // 0000000034DC: 85048004
	s_add_u32 s32, s4, s32                                     // 0000000034E0: 80202004
	s_addc_u32 s33, 0, s33                                     // 0000000034E4: 82212180
	buffer_load_dwordx4 a[0:3], v33, s[24:27], 0 offen         // 0000000034E8: E05C1000 80860021
	buffer_load_dwordx4 a[4:7], v33, s[24:27], 0 offen offset:1024// 0000000034F0: E05C1400 80860421
	buffer_load_dwordx4 a[8:11], v34, s[24:27], 0 offen        // 0000000034F8: E05C1000 80860822
	buffer_load_dwordx4 a[12:15], v34, s[24:27], 0 offen offset:1024// 000000003500: E05C1400 80860C22
	buffer_load_dwordx4 a[16:19], v35, s[24:27], 0 offen       // 000000003508: E05C1000 80861023
	buffer_load_dwordx4 a[20:23], v35, s[24:27], 0 offen offset:1024// 000000003510: E05C1400 80861423
	buffer_load_dwordx4 a[24:27], v36, s[24:27], 0 offen       // 000000003518: E05C1000 80861824
	buffer_load_dwordx4 a[28:31], v36, s[24:27], 0 offen offset:1024// 000000003520: E05C1400 80861C24
	buffer_load_dwordx4 a[32:35], v33, s[24:27], 0 offen offset:2048// 000000003528: E05C1800 80862021
	buffer_load_dwordx4 a[36:39], v33, s[24:27], 0 offen offset:3072// 000000003530: E05C1C00 80862421
	buffer_load_dwordx4 a[40:43], v34, s[24:27], 0 offen offset:2048// 000000003538: E05C1800 80862822
	buffer_load_dwordx4 a[44:47], v34, s[24:27], 0 offen offset:3072// 000000003540: E05C1C00 80862C22
	buffer_load_dwordx4 a[48:51], v35, s[24:27], 0 offen offset:2048// 000000003548: E05C1800 80863023
	buffer_load_dwordx4 a[52:55], v35, s[24:27], 0 offen offset:3072// 000000003550: E05C1C00 80863423
	buffer_load_dwordx4 a[56:59], v36, s[24:27], 0 offen offset:2048// 000000003558: E05C1800 80863824
	buffer_load_dwordx4 a[60:63], v36, s[24:27], 0 offen offset:3072// 000000003560: E05C1C00 80863C24
	buffer_load_dwordx4 a[64:67], v33, s[92:95], 0 offen       // 000000003568: E05C1000 80974021
	buffer_load_dwordx4 a[68:71], v33, s[92:95], 0 offen offset:1024// 000000003570: E05C1400 80974421
	buffer_load_dwordx4 a[72:75], v34, s[92:95], 0 offen       // 000000003578: E05C1000 80974822
	buffer_load_dwordx4 a[76:79], v34, s[92:95], 0 offen offset:1024// 000000003580: E05C1400 80974C22
	buffer_load_dwordx4 a[80:83], v35, s[92:95], 0 offen       // 000000003588: E05C1000 80975023
	buffer_load_dwordx4 a[84:87], v35, s[92:95], 0 offen offset:1024// 000000003590: E05C1400 80975423
	buffer_load_dwordx4 a[88:91], v36, s[92:95], 0 offen       // 000000003598: E05C1000 80975824
	buffer_load_dwordx4 a[92:95], v36, s[92:95], 0 offen offset:1024// 0000000035A0: E05C1400 80975C24
	buffer_load_dwordx4 a[96:99], v33, s[92:95], 0 offen offset:2048// 0000000035A8: E05C1800 80976021
	buffer_load_dwordx4 a[100:103], v33, s[92:95], 0 offen offset:3072// 0000000035B0: E05C1C00 80976421
	buffer_load_dwordx4 a[104:107], v34, s[92:95], 0 offen offset:2048// 0000000035B8: E05C1800 80976822
	buffer_load_dwordx4 a[108:111], v34, s[92:95], 0 offen offset:3072// 0000000035C0: E05C1C00 80976C22
	buffer_load_dwordx4 a[112:115], v35, s[92:95], 0 offen offset:2048// 0000000035C8: E05C1800 80977023
	buffer_load_dwordx4 a[116:119], v35, s[92:95], 0 offen offset:3072// 0000000035D0: E05C1C00 80977423
	buffer_load_dwordx4 a[120:123], v36, s[92:95], 0 offen offset:2048// 0000000035D8: E05C1800 80977824
	buffer_load_dwordx4 a[124:127], v36, s[92:95], 0 offen offset:3072// 0000000035E0: E05C1C00 80977C24
	s_add_u32 s24, s58, s24                                    // 0000000035E8: 8018183A
	s_addc_u32 s25, 0, s25                                     // 0000000035EC: 82191980
	s_add_u32 s92, s90, s92                                    // 0000000035F0: 805C5C5A
	s_addc_u32 s93, 0, s93                                     // 0000000035F4: 825D5D80
	v_mov_b32_e32 v128, 0                                      // 0000000035F8: 7F000280
	v_mov_b32_e32 v64, 0                                       // 0000000035FC: 7E800280
	v_mov_b32_e32 v129, 0                                      // 000000003600: 7F020280
	v_mov_b32_e32 v65, 0                                       // 000000003604: 7E820280
	v_mov_b32_e32 v130, 0                                      // 000000003608: 7F040280
	v_mov_b32_e32 v66, 0                                       // 00000000360C: 7E840280
	v_mov_b32_e32 v131, 0                                      // 000000003610: 7F060280
	v_mov_b32_e32 v67, 0                                       // 000000003614: 7E860280
	v_mov_b32_e32 v132, 0                                      // 000000003618: 7F080280
	v_mov_b32_e32 v68, 0                                       // 00000000361C: 7E880280
	v_mov_b32_e32 v133, 0                                      // 000000003620: 7F0A0280
	v_mov_b32_e32 v69, 0                                       // 000000003624: 7E8A0280
	v_mov_b32_e32 v134, 0                                      // 000000003628: 7F0C0280
	v_mov_b32_e32 v70, 0                                       // 00000000362C: 7E8C0280
	v_mov_b32_e32 v135, 0                                      // 000000003630: 7F0E0280
	v_mov_b32_e32 v71, 0                                       // 000000003634: 7E8E0280
	v_mov_b32_e32 v136, 0                                      // 000000003638: 7F100280
	v_mov_b32_e32 v72, 0                                       // 00000000363C: 7E900280
	v_mov_b32_e32 v137, 0                                      // 000000003640: 7F120280
	v_mov_b32_e32 v73, 0                                       // 000000003644: 7E920280
	v_mov_b32_e32 v138, 0                                      // 000000003648: 7F140280
	v_mov_b32_e32 v74, 0                                       // 00000000364C: 7E940280
	v_mov_b32_e32 v139, 0                                      // 000000003650: 7F160280
	v_mov_b32_e32 v75, 0                                       // 000000003654: 7E960280
	v_mov_b32_e32 v140, 0                                      // 000000003658: 7F180280
	v_mov_b32_e32 v76, 0                                       // 00000000365C: 7E980280
	v_mov_b32_e32 v141, 0                                      // 000000003660: 7F1A0280
	v_mov_b32_e32 v77, 0                                       // 000000003664: 7E9A0280
	v_mov_b32_e32 v142, 0                                      // 000000003668: 7F1C0280
	v_mov_b32_e32 v78, 0                                       // 00000000366C: 7E9C0280
	v_mov_b32_e32 v143, 0                                      // 000000003670: 7F1E0280
	v_mov_b32_e32 v79, 0                                       // 000000003674: 7E9E0280
	v_mov_b32_e32 v144, 0                                      // 000000003678: 7F200280
	v_mov_b32_e32 v80, 0                                       // 00000000367C: 7EA00280
	v_mov_b32_e32 v145, 0                                      // 000000003680: 7F220280
	v_mov_b32_e32 v81, 0                                       // 000000003684: 7EA20280
	v_mov_b32_e32 v146, 0                                      // 000000003688: 7F240280
	v_mov_b32_e32 v82, 0                                       // 00000000368C: 7EA40280
	v_mov_b32_e32 v147, 0                                      // 000000003690: 7F260280
	v_mov_b32_e32 v83, 0                                       // 000000003694: 7EA60280
	v_mov_b32_e32 v148, 0                                      // 000000003698: 7F280280
	v_mov_b32_e32 v84, 0                                       // 00000000369C: 7EA80280
	v_mov_b32_e32 v149, 0                                      // 0000000036A0: 7F2A0280
	v_mov_b32_e32 v85, 0                                       // 0000000036A4: 7EAA0280
	v_mov_b32_e32 v150, 0                                      // 0000000036A8: 7F2C0280
	v_mov_b32_e32 v86, 0                                       // 0000000036AC: 7EAC0280
	v_mov_b32_e32 v151, 0                                      // 0000000036B0: 7F2E0280
	v_mov_b32_e32 v87, 0                                       // 0000000036B4: 7EAE0280
	v_mov_b32_e32 v152, 0                                      // 0000000036B8: 7F300280
	v_mov_b32_e32 v88, 0                                       // 0000000036BC: 7EB00280
	v_mov_b32_e32 v153, 0                                      // 0000000036C0: 7F320280
	v_mov_b32_e32 v89, 0                                       // 0000000036C4: 7EB20280
	v_mov_b32_e32 v154, 0                                      // 0000000036C8: 7F340280
	v_mov_b32_e32 v90, 0                                       // 0000000036CC: 7EB40280
	v_mov_b32_e32 v155, 0                                      // 0000000036D0: 7F360280
	v_mov_b32_e32 v91, 0                                       // 0000000036D4: 7EB60280
	v_mov_b32_e32 v156, 0                                      // 0000000036D8: 7F380280
	v_mov_b32_e32 v92, 0                                       // 0000000036DC: 7EB80280
	v_mov_b32_e32 v157, 0                                      // 0000000036E0: 7F3A0280
	v_mov_b32_e32 v93, 0                                       // 0000000036E4: 7EBA0280
	v_mov_b32_e32 v158, 0                                      // 0000000036E8: 7F3C0280
	v_mov_b32_e32 v94, 0                                       // 0000000036EC: 7EBC0280
	v_mov_b32_e32 v159, 0                                      // 0000000036F0: 7F3E0280
	v_mov_b32_e32 v95, 0                                       // 0000000036F4: 7EBE0280
	v_lshrrev_b32_e32 v46, 4, v0                               // 0000000036F8: 205C0084
	v_mul_lo_u32 v4, 34, v46                                   // 0000000036FC: D2850004 00025CA2
	v_and_b32_e32 v46, 15, v0                                  // 000000003704: 265C008F
	v_mul_lo_u32 v47, 2, v46                                   // 000000003708: D285002F 00025C82
	v_add_u32_e32 v4, v47, v4                                  // 000000003710: 6808092F
	s_mul_i32 s60, s7, 0x88                                    // 000000003714: 923CFF07 00000088
	v_add_u32_e32 v4, s60, v4                                  // 00000000371C: 6808083C
	v_lshlrev_b32_e32 v4, 2, v4                                // 000000003720: 24080882
	v_lshrrev_b32_e32 v46, 1, v0                               // 000000003724: 205C0081
	v_mul_lo_u32 v5, 34, v46                                   // 000000003728: D2850005 00025CA2
	v_and_b32_e32 v47, 1, v0                                   // 000000003730: 265E0081
	v_add_u32_e32 v5, v47, v5                                  // 000000003734: 680A0B2F
	s_mov_b32 s60, 0                                           // 000000003738: BEBC0080
	s_lshr_b32 s61, s7, 1                                      // 00000000373C: 8F3D8107
	s_mul_i32 s61, s61, 8                                      // 000000003740: 923D883D
	s_add_u32 s60, s61, s60                                    // 000000003744: 803C3C3D
	s_and_b32 s61, s7, 1                                       // 000000003748: 863D8107
	s_mul_i32 s61, s61, 2                                      // 00000000374C: 923D823D
	s_add_u32 s60, s61, s60                                    // 000000003750: 803C3C3D
	s_mul_i32 s60, 2, s60                                      // 000000003754: 923C3C82
	v_add_u32_e32 v5, s60, v5                                  // 000000003758: 680A0A3C
	v_lshlrev_b32_e32 v5, 2, v5                                // 00000000375C: 240A0A82
	s_waitcnt vmcnt(32)                                        // 000000003760: BF8C8F70
	v_mov_b32_e32 v26, 0                                       // 000000003764: 7E340280
	v_lshlrev_b32_e32 v46, 16, v160                            // 000000003768: 245D4090
	v_and_b32_e32 v47, 0xffff0000, v160                        // 00000000376C: 265F40FF FFFF0000
	v_max3_f32 v26, |v47|, |v46|, v26                          // 000000003774: D1D3031A 046A5D2F
	v_lshlrev_b32_e32 v46, 16, v161                            // 00000000377C: 245D4290
	v_and_b32_e32 v47, 0xffff0000, v161                        // 000000003780: 265F42FF FFFF0000
	v_max3_f32 v26, |v47|, |v46|, v26                          // 000000003788: D1D3031A 046A5D2F
	v_lshlrev_b32_e32 v46, 16, v162                            // 000000003790: 245D4490
	v_and_b32_e32 v47, 0xffff0000, v162                        // 000000003794: 265F44FF FFFF0000
	v_max3_f32 v26, |v47|, |v46|, v26                          // 00000000379C: D1D3031A 046A5D2F
	v_lshlrev_b32_e32 v46, 16, v163                            // 0000000037A4: 245D4690
	v_and_b32_e32 v47, 0xffff0000, v163                        // 0000000037A8: 265F46FF FFFF0000
	v_max3_f32 v26, |v47|, |v46|, v26                          // 0000000037B0: D1D3031A 046A5D2F
	v_lshlrev_b32_e32 v46, 16, v164                            // 0000000037B8: 245D4890
	v_and_b32_e32 v47, 0xffff0000, v164                        // 0000000037BC: 265F48FF FFFF0000
	v_max3_f32 v26, |v47|, |v46|, v26                          // 0000000037C4: D1D3031A 046A5D2F
	v_lshlrev_b32_e32 v46, 16, v165                            // 0000000037CC: 245D4A90
	v_and_b32_e32 v47, 0xffff0000, v165                        // 0000000037D0: 265F4AFF FFFF0000
	v_max3_f32 v26, |v47|, |v46|, v26                          // 0000000037D8: D1D3031A 046A5D2F
	v_lshlrev_b32_e32 v46, 16, v166                            // 0000000037E0: 245D4C90
	v_and_b32_e32 v47, 0xffff0000, v166                        // 0000000037E4: 265F4CFF FFFF0000
	v_max3_f32 v26, |v47|, |v46|, v26                          // 0000000037EC: D1D3031A 046A5D2F
	v_lshlrev_b32_e32 v46, 16, v167                            // 0000000037F4: 245D4E90
	v_and_b32_e32 v47, 0xffff0000, v167                        // 0000000037F8: 265F4EFF FFFF0000
	v_max3_f32 v26, |v47|, |v46|, v26                          // 000000003800: D1D3031A 046A5D2F
	s_barrier                                                  // 000000003808: BF8A0000
	v_max_f32_dpp v27, v26, v26 quad_perm:[1,2,3,0] row_mask:0xf bank_mask:0xf// 00000000380C: 163634FA FF00391A
	s_nop 1                                                    // 000000003814: BF800001
	v_max_f32_dpp v46, v27, v27 quad_perm:[2,3,0,1] row_mask:0xf bank_mask:0xf// 000000003818: 165C36FA FF004E1B
	s_nop 1                                                    // 000000003820: BF800001
	v_max_f32_dpp v26, v46, v46 row_half_mirror row_mask:0xf bank_mask:0xf// 000000003824: 16345CFA FF01412E
	v_rcp_f32_e32 v46, v26                                     // 00000000382C: 7E5C451A
	v_mov_b32_e32 v47, 0x43e00000                              // 000000003830: 7E5E02FF 43E00000
	v_mul_f32_e32 v27, v47, v46                                // 000000003838: 0A365D2F
	v_mov_b32_e32 v26, v27                                     // 00000000383C: 7E34031B
	v_lshlrev_b32_e32 v46, 16, v160                            // 000000003840: 245D4090
	v_and_b32_e32 v47, 0xffff0000, v160                        // 000000003844: 265F40FF FFFF0000
	v_pk_mul_f32 v[46:47], v[46:47], v[26:27]                  // 00000000384C: D3B1402E 1802352E
	v_cvt_pk_fp8_f32 v160, v46, v47                            // 000000003854: D2A200A0 00025F2E
	v_lshlrev_b32_e32 v46, 16, v161                            // 00000000385C: 245D4290
	v_and_b32_e32 v47, 0xffff0000, v161                        // 000000003860: 265F42FF FFFF0000
	v_pk_mul_f32 v[46:47], v[46:47], v[26:27]                  // 000000003868: D3B1402E 1802352E
	v_cvt_pk_fp8_f32 v160, v46, v47 op_sel:[0,0,1]             // 000000003870: D2A240A0 00025F2E
	v_lshlrev_b32_e32 v46, 16, v162                            // 000000003878: 245D4490
	v_and_b32_e32 v47, 0xffff0000, v162                        // 00000000387C: 265F44FF FFFF0000
	v_pk_mul_f32 v[46:47], v[46:47], v[26:27]                  // 000000003884: D3B1402E 1802352E
	v_cvt_pk_fp8_f32 v161, v46, v47                            // 00000000388C: D2A200A1 00025F2E
	v_lshlrev_b32_e32 v46, 16, v163                            // 000000003894: 245D4690
	v_and_b32_e32 v47, 0xffff0000, v163                        // 000000003898: 265F46FF FFFF0000
	v_pk_mul_f32 v[46:47], v[46:47], v[26:27]                  // 0000000038A0: D3B1402E 1802352E
	v_cvt_pk_fp8_f32 v161, v46, v47 op_sel:[0,0,1]             // 0000000038A8: D2A240A1 00025F2E
	v_lshlrev_b32_e32 v46, 16, v164                            // 0000000038B0: 245D4890
	v_and_b32_e32 v47, 0xffff0000, v164                        // 0000000038B4: 265F48FF FFFF0000
	v_pk_mul_f32 v[46:47], v[46:47], v[26:27]                  // 0000000038BC: D3B1402E 1802352E
	v_cvt_pk_fp8_f32 v162, v46, v47                            // 0000000038C4: D2A200A2 00025F2E
	v_lshlrev_b32_e32 v46, 16, v165                            // 0000000038CC: 245D4A90
	v_and_b32_e32 v47, 0xffff0000, v165                        // 0000000038D0: 265F4AFF FFFF0000
	v_pk_mul_f32 v[46:47], v[46:47], v[26:27]                  // 0000000038D8: D3B1402E 1802352E
	v_cvt_pk_fp8_f32 v162, v46, v47 op_sel:[0,0,1]             // 0000000038E0: D2A240A2 00025F2E
	v_lshlrev_b32_e32 v46, 16, v166                            // 0000000038E8: 245D4C90
	v_and_b32_e32 v47, 0xffff0000, v166                        // 0000000038EC: 265F4CFF FFFF0000
	v_pk_mul_f32 v[46:47], v[46:47], v[26:27]                  // 0000000038F4: D3B1402E 1802352E
	v_cvt_pk_fp8_f32 v163, v46, v47                            // 0000000038FC: D2A200A3 00025F2E
	v_lshlrev_b32_e32 v46, 16, v167                            // 000000003904: 245D4E90
	v_and_b32_e32 v47, 0xffff0000, v167                        // 000000003908: 265F4EFF FFFF0000
	v_pk_mul_f32 v[46:47], v[46:47], v[26:27]                  // 000000003910: D3B1402E 1802352E
	v_cvt_pk_fp8_f32 v163, v46, v47 op_sel:[0,0,1]             // 000000003918: D2A240A3 00025F2E
	v_lshlrev_b32_e32 v46, 4, v0                               // 000000003920: 245C0084
	v_add_u32_e64 v46, v46, s50                                // 000000003924: D134002E 0000652E
	ds_write_b128 v46, v[160:163]                              // 00000000392C: D9BE0000 0000A02E
	v_rcp_f32_e32 v28, v27                                     // 000000003934: 7E38451B
	v_add_u32_e32 v46, 0, v30                                  // 000000003938: 685C3C80
	s_mov_b64 s[60:61], exec                                   // 00000000393C: BEBC017E
	s_mov_b32 s62, 0xf0f0f0f                                   // 000000003940: BEBE00FF 0F0F0F0F
	s_mov_b32 s63, 0xf0f0f0f                                   // 000000003948: BEBF00FF 0F0F0F0F
	s_mov_b64 exec, s[62:63]                                   // 000000003950: BEFE013E
	ds_write_b32 v46, v28 offset:4352                          // 000000003954: D81A1100 00001C2E
	s_mov_b64 exec, s[60:61]                                   // 00000000395C: BEFE013C
	s_waitcnt lgkmcnt(0)                                       // 000000003960: BF8CC07F
	s_barrier                                                  // 000000003964: BF8A0000
	ds_read_b128 v[160:163], v2                                // 000000003968: D9FE0000 A0000002
	ds_read_b128 v[164:167], v2 offset:64                      // 000000003970: D9FE0040 A4000002
	ds_read_b128 v[168:171], v2 offset:512                     // 000000003978: D9FE0200 A8000002
	ds_read_b128 v[172:175], v2 offset:576                     // 000000003980: D9FE0240 AC000002
	ds_read_b32 v15, v3 offset:4352                            // 000000003988: D86C1100 0F000003
	ds_read_b32 v16, v3 offset:4608                            // 000000003990: D86C1200 10000003
	ds_read_b32 v17, v3 offset:4864                            // 000000003998: D86C1300 11000003
	ds_read_b32 v18, v3 offset:5120                            // 0000000039A0: D86C1400 12000003
	s_cmp_lt_i32 s7, 2                                         // 0000000039A8: BF048207
	s_cbranch_scc0 label_0CF0                                  // 0000000039AC: BF840A04

00000000000039b0 <label_02EC>:
	s_waitcnt vmcnt(28) lgkmcnt(0)                             // 0000000039B0: BF8C407C
	s_barrier                                                  // 0000000039B4: BF8A0000
	v_mfma_f32_16x16x128_f8f6f4 v[144:147], a[0:7], v[160:167], 0// 0000000039B8: D3AD0090 0A034100
	v_mfma_f32_16x16x128_f8f6f4 v[148:151], a[8:15], v[160:167], 0// 0000000039C0: D3AD0094 0A034108
	buffer_load_dwordx4 v[176:179], v31, s[20:23], 0 offen     // 0000000039C8: E05C1000 8005B01F
	buffer_load_dwordx4 v[180:183], v31, s[20:23], 0 offen offset:16// 0000000039D0: E05C1010 8005B41F
	buffer_load_dword v20, v11, s[32:35], 0 offen              // 0000000039D8: E0501000 8008140B
	buffer_load_dword v22, v13, s[32:35], 0 offen              // 0000000039E0: E0501000 8008160D
	buffer_load_dwordx4 a[128:131], v33, s[24:27], 0 offen     // 0000000039E8: E05C1000 80868021
	buffer_load_dwordx4 a[132:135], v33, s[24:27], 0 offen offset:1024// 0000000039F0: E05C1400 80868421
	buffer_load_dwordx4 a[136:139], v34, s[24:27], 0 offen     // 0000000039F8: E05C1000 80868822
	buffer_load_dwordx4 a[140:143], v34, s[24:27], 0 offen offset:1024// 000000003A00: E05C1400 80868C22
	s_waitcnt vmcnt(20)                                        // 000000003A08: BF8C4F74
	v_mfma_f32_16x16x128_f8f6f4 v[152:155], a[16:23], v[160:167], 0// 000000003A0C: D3AD0098 0A034110
	v_mfma_f32_16x16x128_f8f6f4 v[156:159], a[24:31], v[160:167], 0// 000000003A14: D3AD009C 0A034118
	buffer_load_dwordx4 a[144:147], v35, s[24:27], 0 offen     // 000000003A1C: E05C1000 80869023
	buffer_load_dwordx4 a[148:151], v35, s[24:27], 0 offen offset:1024// 000000003A24: E05C1400 80869423
	buffer_load_dwordx4 a[152:155], v36, s[24:27], 0 offen     // 000000003A2C: E05C1000 80869824
	buffer_load_dwordx4 a[156:159], v36, s[24:27], 0 offen offset:1024// 000000003A34: E05C1400 80869C24
	v_mul_f32_dpp v46, v19, v15 row_newbcast:0 row_mask:0xf bank_mask:0xf// 000000003A3C: 0A5C1EFA FF015013
	v_mov_b32_e32 v47, v46                                     // 000000003A44: 7E5E032E
	v_pk_fma_f32 v[128:129], v[144:145], v[46:47], v[128:129]  // 000000003A48: D3B04080 1E025D90
	v_pk_fma_f32 v[130:131], v[146:147], v[46:47], v[130:131]  // 000000003A50: D3B04082 1E0A5D92
	v_pk_fma_f32 v[132:133], v[148:149], v[46:47], v[132:133]  // 000000003A58: D3B04084 1E125D94
	v_pk_fma_f32 v[134:135], v[150:151], v[46:47], v[134:135]  // 000000003A60: D3B04086 1E1A5D96
	v_mul_f32_dpp v46, v19, v15 row_newbcast:1 row_mask:0xf bank_mask:0xf// 000000003A68: 0A5C1EFA FF015113
	v_mov_b32_e32 v47, v46                                     // 000000003A70: 7E5E032E
	v_pk_fma_f32 v[136:137], v[152:153], v[46:47], v[136:137]  // 000000003A74: D3B04088 1E225D98
	v_pk_fma_f32 v[138:139], v[154:155], v[46:47], v[138:139]  // 000000003A7C: D3B0408A 1E2A5D9A
	v_pk_fma_f32 v[140:141], v[156:157], v[46:47], v[140:141]  // 000000003A84: D3B0408C 1E325D9C
	v_pk_fma_f32 v[142:143], v[158:159], v[46:47], v[142:143]  // 000000003A8C: D3B0408E 1E3A5D9E
	s_waitcnt vmcnt(20)                                        // 000000003A94: BF8C4F74
	v_mfma_f32_16x16x128_f8f6f4 v[144:147], a[32:39], v[168:175], 0// 000000003A98: D3AD0090 0A035120
	v_mfma_f32_16x16x128_f8f6f4 v[148:151], a[40:47], v[168:175], 0// 000000003AA0: D3AD0094 0A035128
	buffer_load_dwordx4 a[160:163], v33, s[24:27], 0 offen offset:2048// 000000003AA8: E05C1800 8086A021
	buffer_load_dwordx4 a[164:167], v33, s[24:27], 0 offen offset:3072// 000000003AB0: E05C1C00 8086A421
	buffer_load_dwordx4 a[168:171], v34, s[24:27], 0 offen offset:2048// 000000003AB8: E05C1800 8086A822
	buffer_load_dwordx4 a[172:175], v34, s[24:27], 0 offen offset:3072// 000000003AC0: E05C1C00 8086AC22
	s_waitcnt vmcnt(20)                                        // 000000003AC8: BF8C4F74
	v_mfma_f32_16x16x128_f8f6f4 v[152:155], a[48:55], v[168:175], 0// 000000003ACC: D3AD0098 0A035130
	v_mfma_f32_16x16x128_f8f6f4 v[156:159], a[56:63], v[168:175], 0// 000000003AD4: D3AD009C 0A035138
	buffer_load_dwordx4 a[176:179], v35, s[24:27], 0 offen offset:2048// 000000003ADC: E05C1800 8086B023
	buffer_load_dwordx4 a[180:183], v35, s[24:27], 0 offen offset:3072// 000000003AE4: E05C1C00 8086B423
	buffer_load_dwordx4 a[184:187], v36, s[24:27], 0 offen offset:2048// 000000003AEC: E05C1800 8086B824
	buffer_load_dwordx4 a[188:191], v36, s[24:27], 0 offen offset:3072// 000000003AF4: E05C1C00 8086BC24
	v_mul_f32_dpp v46, v19, v16 row_newbcast:2 row_mask:0xf bank_mask:0xf// 000000003AFC: 0A5C20FA FF015213
	v_mov_b32_e32 v47, v46                                     // 000000003B04: 7E5E032E
	v_pk_fma_f32 v[128:129], v[144:145], v[46:47], v[128:129]  // 000000003B08: D3B04080 1E025D90
	v_pk_fma_f32 v[130:131], v[146:147], v[46:47], v[130:131]  // 000000003B10: D3B04082 1E0A5D92
	v_pk_fma_f32 v[132:133], v[148:149], v[46:47], v[132:133]  // 000000003B18: D3B04084 1E125D94
	v_pk_fma_f32 v[134:135], v[150:151], v[46:47], v[134:135]  // 000000003B20: D3B04086 1E1A5D96
	v_mul_f32_dpp v46, v19, v16 row_newbcast:3 row_mask:0xf bank_mask:0xf// 000000003B28: 0A5C20FA FF015313
	v_mov_b32_e32 v47, v46                                     // 000000003B30: 7E5E032E
	v_pk_fma_f32 v[136:137], v[152:153], v[46:47], v[136:137]  // 000000003B34: D3B04088 1E225D98
	v_pk_fma_f32 v[138:139], v[154:155], v[46:47], v[138:139]  // 000000003B3C: D3B0408A 1E2A5D9A
	v_pk_fma_f32 v[140:141], v[156:157], v[46:47], v[140:141]  // 000000003B44: D3B0408C 1E325D9C
	v_pk_fma_f32 v[142:143], v[158:159], v[46:47], v[142:143]  // 000000003B4C: D3B0408E 1E3A5D9E
	s_add_u32 s60, 0x200, s80                                  // 000000003B54: 803C50FF 00000200
	s_cmp_lt_u32 s60, s81                                      // 000000003B5C: BF0A513C
	s_cselect_b32 s4, s4, 0                                    // 000000003B60: 85048004
	s_add_u32 s32, s4, s32                                     // 000000003B64: 80202004
	s_addc_u32 s33, 0, s33                                     // 000000003B68: 82212180
	s_waitcnt vmcnt(0)                                         // 000000003B6C: BF8C0F70
	s_barrier                                                  // 000000003B70: BF8A0000
	v_mfma_f32_16x16x128_f8f6f4 v[144:147], a[64:71], v[160:167], 0// 000000003B74: D3AD0090 0A034140
	v_mfma_f32_16x16x128_f8f6f4 v[148:151], a[72:79], v[160:167], 0// 000000003B7C: D3AD0094 0A034148
	buffer_load_dwordx4 a[192:195], v33, s[92:95], 0 offen     // 000000003B84: E05C1000 8097C021
	buffer_load_dwordx4 a[196:199], v33, s[92:95], 0 offen offset:1024// 000000003B8C: E05C1400 8097C421
	buffer_load_dwordx4 a[200:203], v34, s[92:95], 0 offen     // 000000003B94: E05C1000 8097C822
	buffer_load_dwordx4 a[204:207], v34, s[92:95], 0 offen offset:1024// 000000003B9C: E05C1400 8097CC22
	s_waitcnt vmcnt(4)                                         // 000000003BA4: BF8C0F74
	v_mfma_f32_16x16x128_f8f6f4 v[152:155], a[80:87], v[160:167], 0// 000000003BA8: D3AD0098 0A034150
	v_mfma_f32_16x16x128_f8f6f4 v[156:159], a[88:95], v[160:167], 0// 000000003BB0: D3AD009C 0A034158
	buffer_load_dwordx4 a[208:211], v35, s[92:95], 0 offen     // 000000003BB8: E05C1000 8097D023
	buffer_load_dwordx4 a[212:215], v35, s[92:95], 0 offen offset:1024// 000000003BC0: E05C1400 8097D423
	buffer_load_dwordx4 a[216:219], v36, s[92:95], 0 offen     // 000000003BC8: E05C1000 8097D824
	buffer_load_dwordx4 a[220:223], v36, s[92:95], 0 offen offset:1024// 000000003BD0: E05C1400 8097DC24
	s_waitcnt vmcnt(8)                                         // 000000003BD8: BF8C0F78
	v_mov_b32_e32 v26, 0                                       // 000000003BDC: 7E340280
	v_lshlrev_b32_e32 v46, 16, v176                            // 000000003BE0: 245D6090
	v_and_b32_e32 v47, 0xffff0000, v176                        // 000000003BE4: 265F60FF FFFF0000
	v_max3_f32 v26, |v47|, |v46|, v26                          // 000000003BEC: D1D3031A 046A5D2F
	v_lshlrev_b32_e32 v46, 16, v177                            // 000000003BF4: 245D6290
	v_and_b32_e32 v47, 0xffff0000, v177                        // 000000003BF8: 265F62FF FFFF0000
	v_max3_f32 v26, |v47|, |v46|, v26                          // 000000003C00: D1D3031A 046A5D2F
	v_lshlrev_b32_e32 v46, 16, v178                            // 000000003C08: 245D6490
	v_and_b32_e32 v47, 0xffff0000, v178                        // 000000003C0C: 265F64FF FFFF0000
	v_max3_f32 v26, |v47|, |v46|, v26                          // 000000003C14: D1D3031A 046A5D2F
	v_lshlrev_b32_e32 v46, 16, v179                            // 000000003C1C: 245D6690
	v_and_b32_e32 v47, 0xffff0000, v179                        // 000000003C20: 265F66FF FFFF0000
	v_max3_f32 v26, |v47|, |v46|, v26                          // 000000003C28: D1D3031A 046A5D2F
	v_lshlrev_b32_e32 v46, 16, v180                            // 000000003C30: 245D6890
	v_and_b32_e32 v47, 0xffff0000, v180                        // 000000003C34: 265F68FF FFFF0000
	v_max3_f32 v26, |v47|, |v46|, v26                          // 000000003C3C: D1D3031A 046A5D2F
	v_lshlrev_b32_e32 v46, 16, v181                            // 000000003C44: 245D6A90
	v_and_b32_e32 v47, 0xffff0000, v181                        // 000000003C48: 265F6AFF FFFF0000
	v_max3_f32 v26, |v47|, |v46|, v26                          // 000000003C50: D1D3031A 046A5D2F
	v_lshlrev_b32_e32 v46, 16, v182                            // 000000003C58: 245D6C90
	v_and_b32_e32 v47, 0xffff0000, v182                        // 000000003C5C: 265F6CFF FFFF0000
	v_max3_f32 v26, |v47|, |v46|, v26                          // 000000003C64: D1D3031A 046A5D2F
	v_lshlrev_b32_e32 v46, 16, v183                            // 000000003C6C: 245D6E90
	v_and_b32_e32 v47, 0xffff0000, v183                        // 000000003C70: 265F6EFF FFFF0000
	v_max3_f32 v26, |v47|, |v46|, v26                          // 000000003C78: D1D3031A 046A5D2F
	s_barrier                                                  // 000000003C80: BF8A0000
	v_max_f32_dpp v27, v26, v26 quad_perm:[1,2,3,0] row_mask:0xf bank_mask:0xf// 000000003C84: 163634FA FF00391A
	s_nop 1                                                    // 000000003C8C: BF800001
	v_max_f32_dpp v46, v27, v27 quad_perm:[2,3,0,1] row_mask:0xf bank_mask:0xf// 000000003C90: 165C36FA FF004E1B
	s_nop 1                                                    // 000000003C98: BF800001
	v_max_f32_dpp v26, v46, v46 row_half_mirror row_mask:0xf bank_mask:0xf// 000000003C9C: 16345CFA FF01412E
	v_rcp_f32_e32 v46, v26                                     // 000000003CA4: 7E5C451A
	v_mov_b32_e32 v47, 0x43e00000                              // 000000003CA8: 7E5E02FF 43E00000
	v_mul_f32_e32 v27, v47, v46                                // 000000003CB0: 0A365D2F
	v_mov_b32_e32 v26, v27                                     // 000000003CB4: 7E34031B
	v_lshlrev_b32_e32 v46, 16, v176                            // 000000003CB8: 245D6090
	v_and_b32_e32 v47, 0xffff0000, v176                        // 000000003CBC: 265F60FF FFFF0000
	v_pk_mul_f32 v[46:47], v[46:47], v[26:27]                  // 000000003CC4: D3B1402E 1802352E
	v_cvt_pk_fp8_f32 v176, v46, v47                            // 000000003CCC: D2A200B0 00025F2E
	v_lshlrev_b32_e32 v46, 16, v177                            // 000000003CD4: 245D6290
	v_and_b32_e32 v47, 0xffff0000, v177                        // 000000003CD8: 265F62FF FFFF0000
	v_pk_mul_f32 v[46:47], v[46:47], v[26:27]                  // 000000003CE0: D3B1402E 1802352E
	v_cvt_pk_fp8_f32 v176, v46, v47 op_sel:[0,0,1]             // 000000003CE8: D2A240B0 00025F2E
	v_lshlrev_b32_e32 v46, 16, v178                            // 000000003CF0: 245D6490
	v_and_b32_e32 v47, 0xffff0000, v178                        // 000000003CF4: 265F64FF FFFF0000
	v_pk_mul_f32 v[46:47], v[46:47], v[26:27]                  // 000000003CFC: D3B1402E 1802352E
	v_cvt_pk_fp8_f32 v177, v46, v47                            // 000000003D04: D2A200B1 00025F2E
	v_lshlrev_b32_e32 v46, 16, v179                            // 000000003D0C: 245D6690
	v_and_b32_e32 v47, 0xffff0000, v179                        // 000000003D10: 265F66FF FFFF0000
	v_pk_mul_f32 v[46:47], v[46:47], v[26:27]                  // 000000003D18: D3B1402E 1802352E
	v_cvt_pk_fp8_f32 v177, v46, v47 op_sel:[0,0,1]             // 000000003D20: D2A240B1 00025F2E
	v_lshlrev_b32_e32 v46, 16, v180                            // 000000003D28: 245D6890
	v_and_b32_e32 v47, 0xffff0000, v180                        // 000000003D2C: 265F68FF FFFF0000
	v_pk_mul_f32 v[46:47], v[46:47], v[26:27]                  // 000000003D34: D3B1402E 1802352E
	v_cvt_pk_fp8_f32 v178, v46, v47                            // 000000003D3C: D2A200B2 00025F2E
	v_lshlrev_b32_e32 v46, 16, v181                            // 000000003D44: 245D6A90
	v_and_b32_e32 v47, 0xffff0000, v181                        // 000000003D48: 265F6AFF FFFF0000
	v_pk_mul_f32 v[46:47], v[46:47], v[26:27]                  // 000000003D50: D3B1402E 1802352E
	v_cvt_pk_fp8_f32 v178, v46, v47 op_sel:[0,0,1]             // 000000003D58: D2A240B2 00025F2E
	v_lshlrev_b32_e32 v46, 16, v182                            // 000000003D60: 245D6C90
	v_and_b32_e32 v47, 0xffff0000, v182                        // 000000003D64: 265F6CFF FFFF0000
	v_pk_mul_f32 v[46:47], v[46:47], v[26:27]                  // 000000003D6C: D3B1402E 1802352E
	v_cvt_pk_fp8_f32 v179, v46, v47                            // 000000003D74: D2A200B3 00025F2E
	v_lshlrev_b32_e32 v46, 16, v183                            // 000000003D7C: 245D6E90
	v_and_b32_e32 v47, 0xffff0000, v183                        // 000000003D80: 265F6EFF FFFF0000
	v_pk_mul_f32 v[46:47], v[46:47], v[26:27]                  // 000000003D88: D3B1402E 1802352E
	v_cvt_pk_fp8_f32 v179, v46, v47 op_sel:[0,0,1]             // 000000003D90: D2A240B3 00025F2E
	v_lshlrev_b32_e32 v46, 4, v0                               // 000000003D98: 245C0084
	v_add_u32_e64 v46, v46, s51                                // 000000003D9C: D134002E 0000672E
	ds_write_b128 v46, v[176:179]                              // 000000003DA4: D9BE0000 0000B02E
	v_rcp_f32_e32 v28, v27                                     // 000000003DAC: 7E38451B
	v_add_u32_e32 v46, 0, v30                                  // 000000003DB0: 685C3C80
	s_mov_b64 s[60:61], exec                                   // 000000003DB4: BEBC017E
	s_mov_b32 s62, 0xf0f0f0f                                   // 000000003DB8: BEBE00FF 0F0F0F0F
	s_mov_b32 s63, 0xf0f0f0f                                   // 000000003DC0: BEBF00FF 0F0F0F0F
	s_mov_b64 exec, s[62:63]                                   // 000000003DC8: BEFE013E
	ds_write_b32 v46, v28 offset:9728                          // 000000003DCC: D81A2600 00001C2E
	s_mov_b64 exec, s[60:61]                                   // 000000003DD4: BEFE013C
	v_mul_f32_dpp v46, v21, v15 row_newbcast:0 row_mask:0xf bank_mask:0xf// 000000003DD8: 0A5C1EFA FF015015
	v_mov_b32_e32 v47, v46                                     // 000000003DE0: 7E5E032E
	v_pk_fma_f32 v[64:65], v[144:145], v[46:47], v[64:65]      // 000000003DE4: D3B04040 1D025D90
	v_pk_fma_f32 v[66:67], v[146:147], v[46:47], v[66:67]      // 000000003DEC: D3B04042 1D0A5D92
	v_pk_fma_f32 v[68:69], v[148:149], v[46:47], v[68:69]      // 000000003DF4: D3B04044 1D125D94
	v_pk_fma_f32 v[70:71], v[150:151], v[46:47], v[70:71]      // 000000003DFC: D3B04046 1D1A5D96
	v_mul_f32_dpp v46, v21, v15 row_newbcast:1 row_mask:0xf bank_mask:0xf// 000000003E04: 0A5C1EFA FF015115
	v_mov_b32_e32 v47, v46                                     // 000000003E0C: 7E5E032E
	v_pk_fma_f32 v[72:73], v[152:153], v[46:47], v[72:73]      // 000000003E10: D3B04048 1D225D98
	v_pk_fma_f32 v[74:75], v[154:155], v[46:47], v[74:75]      // 000000003E18: D3B0404A 1D2A5D9A
	v_pk_fma_f32 v[76:77], v[156:157], v[46:47], v[76:77]      // 000000003E20: D3B0404C 1D325D9C
	v_pk_fma_f32 v[78:79], v[158:159], v[46:47], v[78:79]      // 000000003E28: D3B0404E 1D3A5D9E
	s_waitcnt vmcnt(4)                                         // 000000003E30: BF8C0F74
	v_mfma_f32_16x16x128_f8f6f4 v[144:147], a[96:103], v[168:175], 0// 000000003E34: D3AD0090 0A035160
	s_waitcnt lgkmcnt(0)                                       // 000000003E3C: BF8CC07F
	s_barrier                                                  // 000000003E40: BF8A0000
	ds_read_b128 v[176:179], v2 offset:5376                    // 000000003E44: D9FE1500 B0000002
	ds_read_b128 v[180:183], v2 offset:5440                    // 000000003E4C: D9FE1540 B4000002
	ds_read_b32 v17, v3 offset:9728                            // 000000003E54: D86C2600 11000003
	v_mfma_f32_16x16x128_f8f6f4 v[148:151], a[104:111], v[168:175], 0// 000000003E5C: D3AD0094 0A035168
	buffer_load_dwordx4 a[224:227], v33, s[92:95], 0 offen offset:2048// 000000003E64: E05C1800 8097E021
	buffer_load_dwordx4 a[228:231], v33, s[92:95], 0 offen offset:3072// 000000003E6C: E05C1C00 8097E421
	buffer_load_dwordx4 a[232:235], v34, s[92:95], 0 offen offset:2048// 000000003E74: E05C1800 8097E822
	buffer_load_dwordx4 a[236:239], v34, s[92:95], 0 offen offset:3072// 000000003E7C: E05C1C00 8097EC22
	s_waitcnt vmcnt(4)                                         // 000000003E84: BF8C0F74
	v_mfma_f32_16x16x128_f8f6f4 v[152:155], a[112:119], v[168:175], 0// 000000003E88: D3AD0098 0A035170
	ds_read_b128 v[184:187], v2 offset:5888                    // 000000003E90: D9FE1700 B8000002
	ds_read_b128 v[188:191], v2 offset:5952                    // 000000003E98: D9FE1740 BC000002
	ds_read_b32 v18, v3 offset:9984                            // 000000003EA0: D86C2700 12000003
	v_mfma_f32_16x16x128_f8f6f4 v[156:159], a[120:127], v[168:175], 0// 000000003EA8: D3AD009C 0A035178
	buffer_load_dwordx4 a[240:243], v35, s[92:95], 0 offen offset:2048// 000000003EB0: E05C1800 8097F023
	buffer_load_dwordx4 a[244:247], v35, s[92:95], 0 offen offset:3072// 000000003EB8: E05C1C00 8097F423
	buffer_load_dwordx4 a[248:251], v36, s[92:95], 0 offen offset:2048// 000000003EC0: E05C1800 8097F824
	buffer_load_dwordx4 a[252:255], v36, s[92:95], 0 offen offset:3072// 000000003EC8: E05C1C00 8097FC24
	v_mul_f32_dpp v46, v21, v16 row_newbcast:2 row_mask:0xf bank_mask:0xf// 000000003ED0: 0A5C20FA FF015215
	v_mov_b32_e32 v47, v46                                     // 000000003ED8: 7E5E032E
	v_pk_fma_f32 v[64:65], v[144:145], v[46:47], v[64:65]      // 000000003EDC: D3B04040 1D025D90
	v_pk_fma_f32 v[66:67], v[146:147], v[46:47], v[66:67]      // 000000003EE4: D3B04042 1D0A5D92
	v_pk_fma_f32 v[68:69], v[148:149], v[46:47], v[68:69]      // 000000003EEC: D3B04044 1D125D94
	v_pk_fma_f32 v[70:71], v[150:151], v[46:47], v[70:71]      // 000000003EF4: D3B04046 1D1A5D96
	v_mul_f32_dpp v46, v21, v16 row_newbcast:3 row_mask:0xf bank_mask:0xf// 000000003EFC: 0A5C20FA FF015315
	v_mov_b32_e32 v47, v46                                     // 000000003F04: 7E5E032E
	v_pk_fma_f32 v[72:73], v[152:153], v[46:47], v[72:73]      // 000000003F08: D3B04048 1D225D98
	v_pk_fma_f32 v[74:75], v[154:155], v[46:47], v[74:75]      // 000000003F10: D3B0404A 1D2A5D9A
	v_pk_fma_f32 v[76:77], v[156:157], v[46:47], v[76:77]      // 000000003F18: D3B0404C 1D325D9C
	v_pk_fma_f32 v[78:79], v[158:159], v[46:47], v[78:79]      // 000000003F20: D3B0404E 1D3A5D9E
	s_add_u32 s60, 0x200, s80                                  // 000000003F28: 803C50FF 00000200
	s_cmp_lt_u32 s60, s81                                      // 000000003F30: BF0A513C
	s_cselect_b32 s57, s57, 0                                  // 000000003F34: 85398039
	s_add_u32 s60, 0x200, s80                                  // 000000003F38: 803C50FF 00000200
	s_cmp_lt_u32 s60, s81                                      // 000000003F40: BF0A513C
	s_cselect_b32 s58, s58, 0                                  // 000000003F44: 853A803A
	s_cselect_b32 s90, s90, 0                                  // 000000003F48: 855A805A
	s_add_u32 s20, s57, s20                                    // 000000003F4C: 80141439
	s_addc_u32 s21, 0, s21                                     // 000000003F50: 82151580
	s_add_u32 s24, s58, s24                                    // 000000003F54: 8018183A
	s_addc_u32 s25, 0, s25                                     // 000000003F58: 82191980
	s_add_u32 s92, s90, s92                                    // 000000003F5C: 805C5C5A
	s_addc_u32 s93, 0, s93                                     // 000000003F60: 825D5D80
	s_addk_i32 s80, 0x100                                      // 000000003F64: B7500100
	s_cmp_lt_i32 s80, s81                                      // 000000003F68: BF045150
	s_cbranch_scc0 label_05CD                                  // 000000003F6C: BF840171
	s_waitcnt vmcnt(28) lgkmcnt(0)                             // 000000003F70: BF8C407C
	s_barrier                                                  // 000000003F74: BF8A0000
	v_mfma_f32_16x16x128_f8f6f4 v[144:147], a[128:135], v[176:183], 0// 000000003F78: D3AD0090 0A036180
	v_mfma_f32_16x16x128_f8f6f4 v[148:151], a[136:143], v[176:183], 0// 000000003F80: D3AD0094 0A036188
	buffer_load_dwordx4 v[160:163], v31, s[20:23], 0 offen     // 000000003F88: E05C1000 8005A01F
	buffer_load_dwordx4 v[164:167], v31, s[20:23], 0 offen offset:16// 000000003F90: E05C1010 8005A41F
	buffer_load_dword v19, v11, s[32:35], 0 offen              // 000000003F98: E0501000 8008130B
	buffer_load_dword v21, v13, s[32:35], 0 offen              // 000000003FA0: E0501000 8008150D
	buffer_load_dwordx4 a[0:3], v33, s[24:27], 0 offen         // 000000003FA8: E05C1000 80860021
	buffer_load_dwordx4 a[4:7], v33, s[24:27], 0 offen offset:1024// 000000003FB0: E05C1400 80860421
	buffer_load_dwordx4 a[8:11], v34, s[24:27], 0 offen        // 000000003FB8: E05C1000 80860822
	buffer_load_dwordx4 a[12:15], v34, s[24:27], 0 offen offset:1024// 000000003FC0: E05C1400 80860C22
	s_waitcnt vmcnt(20)                                        // 000000003FC8: BF8C4F74
	v_mfma_f32_16x16x128_f8f6f4 v[152:155], a[144:151], v[176:183], 0// 000000003FCC: D3AD0098 0A036190
	v_mfma_f32_16x16x128_f8f6f4 v[156:159], a[152:159], v[176:183], 0// 000000003FD4: D3AD009C 0A036198
	buffer_load_dwordx4 a[16:19], v35, s[24:27], 0 offen       // 000000003FDC: E05C1000 80861023
	buffer_load_dwordx4 a[20:23], v35, s[24:27], 0 offen offset:1024// 000000003FE4: E05C1400 80861423
	buffer_load_dwordx4 a[24:27], v36, s[24:27], 0 offen       // 000000003FEC: E05C1000 80861824
	buffer_load_dwordx4 a[28:31], v36, s[24:27], 0 offen offset:1024// 000000003FF4: E05C1400 80861C24
	v_mul_f32_dpp v46, v20, v17 row_newbcast:0 row_mask:0xf bank_mask:0xf// 000000003FFC: 0A5C22FA FF015014
	v_mov_b32_e32 v47, v46                                     // 000000004004: 7E5E032E
	v_pk_fma_f32 v[128:129], v[144:145], v[46:47], v[128:129]  // 000000004008: D3B04080 1E025D90
	v_pk_fma_f32 v[130:131], v[146:147], v[46:47], v[130:131]  // 000000004010: D3B04082 1E0A5D92
	v_pk_fma_f32 v[132:133], v[148:149], v[46:47], v[132:133]  // 000000004018: D3B04084 1E125D94
	v_pk_fma_f32 v[134:135], v[150:151], v[46:47], v[134:135]  // 000000004020: D3B04086 1E1A5D96
	v_mul_f32_dpp v46, v20, v17 row_newbcast:1 row_mask:0xf bank_mask:0xf// 000000004028: 0A5C22FA FF015114
	v_mov_b32_e32 v47, v46                                     // 000000004030: 7E5E032E
	v_pk_fma_f32 v[136:137], v[152:153], v[46:47], v[136:137]  // 000000004034: D3B04088 1E225D98
	v_pk_fma_f32 v[138:139], v[154:155], v[46:47], v[138:139]  // 00000000403C: D3B0408A 1E2A5D9A
	v_pk_fma_f32 v[140:141], v[156:157], v[46:47], v[140:141]  // 000000004044: D3B0408C 1E325D9C
	v_pk_fma_f32 v[142:143], v[158:159], v[46:47], v[142:143]  // 00000000404C: D3B0408E 1E3A5D9E
	s_waitcnt vmcnt(20)                                        // 000000004054: BF8C4F74
	v_mfma_f32_16x16x128_f8f6f4 v[144:147], a[160:167], v[184:191], 0// 000000004058: D3AD0090 0A0371A0
	v_mfma_f32_16x16x128_f8f6f4 v[148:151], a[168:175], v[184:191], 0// 000000004060: D3AD0094 0A0371A8
	buffer_load_dwordx4 a[32:35], v33, s[24:27], 0 offen offset:2048// 000000004068: E05C1800 80862021
	buffer_load_dwordx4 a[36:39], v33, s[24:27], 0 offen offset:3072// 000000004070: E05C1C00 80862421
	buffer_load_dwordx4 a[40:43], v34, s[24:27], 0 offen offset:2048// 000000004078: E05C1800 80862822
	buffer_load_dwordx4 a[44:47], v34, s[24:27], 0 offen offset:3072// 000000004080: E05C1C00 80862C22
	s_waitcnt vmcnt(20)                                        // 000000004088: BF8C4F74
	v_mfma_f32_16x16x128_f8f6f4 v[152:155], a[176:183], v[184:191], 0// 00000000408C: D3AD0098 0A0371B0
	v_mfma_f32_16x16x128_f8f6f4 v[156:159], a[184:191], v[184:191], 0// 000000004094: D3AD009C 0A0371B8
	buffer_load_dwordx4 a[48:51], v35, s[24:27], 0 offen offset:2048// 00000000409C: E05C1800 80863023
	buffer_load_dwordx4 a[52:55], v35, s[24:27], 0 offen offset:3072// 0000000040A4: E05C1C00 80863423
	buffer_load_dwordx4 a[56:59], v36, s[24:27], 0 offen offset:2048// 0000000040AC: E05C1800 80863824
	buffer_load_dwordx4 a[60:63], v36, s[24:27], 0 offen offset:3072// 0000000040B4: E05C1C00 80863C24
	v_mul_f32_dpp v46, v20, v18 row_newbcast:2 row_mask:0xf bank_mask:0xf// 0000000040BC: 0A5C24FA FF015214
	v_mov_b32_e32 v47, v46                                     // 0000000040C4: 7E5E032E
	v_pk_fma_f32 v[128:129], v[144:145], v[46:47], v[128:129]  // 0000000040C8: D3B04080 1E025D90
	v_pk_fma_f32 v[130:131], v[146:147], v[46:47], v[130:131]  // 0000000040D0: D3B04082 1E0A5D92
	v_pk_fma_f32 v[132:133], v[148:149], v[46:47], v[132:133]  // 0000000040D8: D3B04084 1E125D94
	v_pk_fma_f32 v[134:135], v[150:151], v[46:47], v[134:135]  // 0000000040E0: D3B04086 1E1A5D96
	v_mul_f32_dpp v46, v20, v18 row_newbcast:3 row_mask:0xf bank_mask:0xf// 0000000040E8: 0A5C24FA FF015314
	v_mov_b32_e32 v47, v46                                     // 0000000040F0: 7E5E032E
	v_pk_fma_f32 v[136:137], v[152:153], v[46:47], v[136:137]  // 0000000040F4: D3B04088 1E225D98
	v_pk_fma_f32 v[138:139], v[154:155], v[46:47], v[138:139]  // 0000000040FC: D3B0408A 1E2A5D9A
	v_pk_fma_f32 v[140:141], v[156:157], v[46:47], v[140:141]  // 000000004104: D3B0408C 1E325D9C
	v_pk_fma_f32 v[142:143], v[158:159], v[46:47], v[142:143]  // 00000000410C: D3B0408E 1E3A5D9E
	s_add_u32 s60, 0x200, s80                                  // 000000004114: 803C50FF 00000200
	s_cmp_lt_u32 s60, s81                                      // 00000000411C: BF0A513C
	s_cselect_b32 s4, s4, 0                                    // 000000004120: 85048004
	s_add_u32 s32, s4, s32                                     // 000000004124: 80202004
	s_addc_u32 s33, 0, s33                                     // 000000004128: 82212180
	s_waitcnt vmcnt(0)                                         // 00000000412C: BF8C0F70
	s_barrier                                                  // 000000004130: BF8A0000
	v_mfma_f32_16x16x128_f8f6f4 v[144:147], a[192:199], v[176:183], 0// 000000004134: D3AD0090 0A0361C0
	v_mfma_f32_16x16x128_f8f6f4 v[148:151], a[200:207], v[176:183], 0// 00000000413C: D3AD0094 0A0361C8
	buffer_load_dwordx4 a[64:67], v33, s[92:95], 0 offen       // 000000004144: E05C1000 80974021
	buffer_load_dwordx4 a[68:71], v33, s[92:95], 0 offen offset:1024// 00000000414C: E05C1400 80974421
	buffer_load_dwordx4 a[72:75], v34, s[92:95], 0 offen       // 000000004154: E05C1000 80974822
	buffer_load_dwordx4 a[76:79], v34, s[92:95], 0 offen offset:1024// 00000000415C: E05C1400 80974C22
	s_waitcnt vmcnt(4)                                         // 000000004164: BF8C0F74
	v_mfma_f32_16x16x128_f8f6f4 v[152:155], a[208:215], v[176:183], 0// 000000004168: D3AD0098 0A0361D0
	v_mfma_f32_16x16x128_f8f6f4 v[156:159], a[216:223], v[176:183], 0// 000000004170: D3AD009C 0A0361D8
	buffer_load_dwordx4 a[80:83], v35, s[92:95], 0 offen       // 000000004178: E05C1000 80975023
	buffer_load_dwordx4 a[84:87], v35, s[92:95], 0 offen offset:1024// 000000004180: E05C1400 80975423
	buffer_load_dwordx4 a[88:91], v36, s[92:95], 0 offen       // 000000004188: E05C1000 80975824
	buffer_load_dwordx4 a[92:95], v36, s[92:95], 0 offen offset:1024// 000000004190: E05C1400 80975C24
	s_waitcnt vmcnt(8)                                         // 000000004198: BF8C0F78
	v_mov_b32_e32 v26, 0                                       // 00000000419C: 7E340280
	v_lshlrev_b32_e32 v46, 16, v160                            // 0000000041A0: 245D4090
	v_and_b32_e32 v47, 0xffff0000, v160                        // 0000000041A4: 265F40FF FFFF0000
	v_max3_f32 v26, |v47|, |v46|, v26                          // 0000000041AC: D1D3031A 046A5D2F
	v_lshlrev_b32_e32 v46, 16, v161                            // 0000000041B4: 245D4290
	v_and_b32_e32 v47, 0xffff0000, v161                        // 0000000041B8: 265F42FF FFFF0000
	v_max3_f32 v26, |v47|, |v46|, v26                          // 0000000041C0: D1D3031A 046A5D2F
	v_lshlrev_b32_e32 v46, 16, v162                            // 0000000041C8: 245D4490
	v_and_b32_e32 v47, 0xffff0000, v162                        // 0000000041CC: 265F44FF FFFF0000
	v_max3_f32 v26, |v47|, |v46|, v26                          // 0000000041D4: D1D3031A 046A5D2F
	v_lshlrev_b32_e32 v46, 16, v163                            // 0000000041DC: 245D4690
	v_and_b32_e32 v47, 0xffff0000, v163                        // 0000000041E0: 265F46FF FFFF0000
	v_max3_f32 v26, |v47|, |v46|, v26                          // 0000000041E8: D1D3031A 046A5D2F
	v_lshlrev_b32_e32 v46, 16, v164                            // 0000000041F0: 245D4890
	v_and_b32_e32 v47, 0xffff0000, v164                        // 0000000041F4: 265F48FF FFFF0000
	v_max3_f32 v26, |v47|, |v46|, v26                          // 0000000041FC: D1D3031A 046A5D2F
	v_lshlrev_b32_e32 v46, 16, v165                            // 000000004204: 245D4A90
	v_and_b32_e32 v47, 0xffff0000, v165                        // 000000004208: 265F4AFF FFFF0000
	v_max3_f32 v26, |v47|, |v46|, v26                          // 000000004210: D1D3031A 046A5D2F
	v_lshlrev_b32_e32 v46, 16, v166                            // 000000004218: 245D4C90
	v_and_b32_e32 v47, 0xffff0000, v166                        // 00000000421C: 265F4CFF FFFF0000
	v_max3_f32 v26, |v47|, |v46|, v26                          // 000000004224: D1D3031A 046A5D2F
	v_lshlrev_b32_e32 v46, 16, v167                            // 00000000422C: 245D4E90
	v_and_b32_e32 v47, 0xffff0000, v167                        // 000000004230: 265F4EFF FFFF0000
	v_max3_f32 v26, |v47|, |v46|, v26                          // 000000004238: D1D3031A 046A5D2F
	s_barrier                                                  // 000000004240: BF8A0000
	v_max_f32_dpp v27, v26, v26 quad_perm:[1,2,3,0] row_mask:0xf bank_mask:0xf// 000000004244: 163634FA FF00391A
	s_nop 1                                                    // 00000000424C: BF800001
	v_max_f32_dpp v46, v27, v27 quad_perm:[2,3,0,1] row_mask:0xf bank_mask:0xf// 000000004250: 165C36FA FF004E1B
	s_nop 1                                                    // 000000004258: BF800001
	v_max_f32_dpp v26, v46, v46 row_half_mirror row_mask:0xf bank_mask:0xf// 00000000425C: 16345CFA FF01412E
	v_rcp_f32_e32 v46, v26                                     // 000000004264: 7E5C451A
	v_mov_b32_e32 v47, 0x43e00000                              // 000000004268: 7E5E02FF 43E00000
	v_mul_f32_e32 v27, v47, v46                                // 000000004270: 0A365D2F
	v_mov_b32_e32 v26, v27                                     // 000000004274: 7E34031B
	v_lshlrev_b32_e32 v46, 16, v160                            // 000000004278: 245D4090
	v_and_b32_e32 v47, 0xffff0000, v160                        // 00000000427C: 265F40FF FFFF0000
	v_pk_mul_f32 v[46:47], v[46:47], v[26:27]                  // 000000004284: D3B1402E 1802352E
	v_cvt_pk_fp8_f32 v160, v46, v47                            // 00000000428C: D2A200A0 00025F2E
	v_lshlrev_b32_e32 v46, 16, v161                            // 000000004294: 245D4290
	v_and_b32_e32 v47, 0xffff0000, v161                        // 000000004298: 265F42FF FFFF0000
	v_pk_mul_f32 v[46:47], v[46:47], v[26:27]                  // 0000000042A0: D3B1402E 1802352E
	v_cvt_pk_fp8_f32 v160, v46, v47 op_sel:[0,0,1]             // 0000000042A8: D2A240A0 00025F2E
	v_lshlrev_b32_e32 v46, 16, v162                            // 0000000042B0: 245D4490
	v_and_b32_e32 v47, 0xffff0000, v162                        // 0000000042B4: 265F44FF FFFF0000
	v_pk_mul_f32 v[46:47], v[46:47], v[26:27]                  // 0000000042BC: D3B1402E 1802352E
	v_cvt_pk_fp8_f32 v161, v46, v47                            // 0000000042C4: D2A200A1 00025F2E
	v_lshlrev_b32_e32 v46, 16, v163                            // 0000000042CC: 245D4690
	v_and_b32_e32 v47, 0xffff0000, v163                        // 0000000042D0: 265F46FF FFFF0000
	v_pk_mul_f32 v[46:47], v[46:47], v[26:27]                  // 0000000042D8: D3B1402E 1802352E
	v_cvt_pk_fp8_f32 v161, v46, v47 op_sel:[0,0,1]             // 0000000042E0: D2A240A1 00025F2E
	v_lshlrev_b32_e32 v46, 16, v164                            // 0000000042E8: 245D4890
	v_and_b32_e32 v47, 0xffff0000, v164                        // 0000000042EC: 265F48FF FFFF0000
	v_pk_mul_f32 v[46:47], v[46:47], v[26:27]                  // 0000000042F4: D3B1402E 1802352E
	v_cvt_pk_fp8_f32 v162, v46, v47                            // 0000000042FC: D2A200A2 00025F2E
	v_lshlrev_b32_e32 v46, 16, v165                            // 000000004304: 245D4A90
	v_and_b32_e32 v47, 0xffff0000, v165                        // 000000004308: 265F4AFF FFFF0000
	v_pk_mul_f32 v[46:47], v[46:47], v[26:27]                  // 000000004310: D3B1402E 1802352E
	v_cvt_pk_fp8_f32 v162, v46, v47 op_sel:[0,0,1]             // 000000004318: D2A240A2 00025F2E
	v_lshlrev_b32_e32 v46, 16, v166                            // 000000004320: 245D4C90
	v_and_b32_e32 v47, 0xffff0000, v166                        // 000000004324: 265F4CFF FFFF0000
	v_pk_mul_f32 v[46:47], v[46:47], v[26:27]                  // 00000000432C: D3B1402E 1802352E
	v_cvt_pk_fp8_f32 v163, v46, v47                            // 000000004334: D2A200A3 00025F2E
	v_lshlrev_b32_e32 v46, 16, v167                            // 00000000433C: 245D4E90
	v_and_b32_e32 v47, 0xffff0000, v167                        // 000000004340: 265F4EFF FFFF0000
	v_pk_mul_f32 v[46:47], v[46:47], v[26:27]                  // 000000004348: D3B1402E 1802352E
	v_cvt_pk_fp8_f32 v163, v46, v47 op_sel:[0,0,1]             // 000000004350: D2A240A3 00025F2E
	v_lshlrev_b32_e32 v46, 4, v0                               // 000000004358: 245C0084
	v_add_u32_e64 v46, v46, s50                                // 00000000435C: D134002E 0000652E
	ds_write_b128 v46, v[160:163]                              // 000000004364: D9BE0000 0000A02E
	v_rcp_f32_e32 v28, v27                                     // 00000000436C: 7E38451B
	v_add_u32_e32 v46, 0, v30                                  // 000000004370: 685C3C80
	s_mov_b64 s[60:61], exec                                   // 000000004374: BEBC017E
	s_mov_b32 s62, 0xf0f0f0f                                   // 000000004378: BEBE00FF 0F0F0F0F
	s_mov_b32 s63, 0xf0f0f0f                                   // 000000004380: BEBF00FF 0F0F0F0F
	s_mov_b64 exec, s[62:63]                                   // 000000004388: BEFE013E
	ds_write_b32 v46, v28 offset:4352                          // 00000000438C: D81A1100 00001C2E
	s_mov_b64 exec, s[60:61]                                   // 000000004394: BEFE013C
	v_mul_f32_dpp v46, v22, v17 row_newbcast:0 row_mask:0xf bank_mask:0xf// 000000004398: 0A5C22FA FF015016
	v_mov_b32_e32 v47, v46                                     // 0000000043A0: 7E5E032E
	v_pk_fma_f32 v[64:65], v[144:145], v[46:47], v[64:65]      // 0000000043A4: D3B04040 1D025D90
	v_pk_fma_f32 v[66:67], v[146:147], v[46:47], v[66:67]      // 0000000043AC: D3B04042 1D0A5D92
	v_pk_fma_f32 v[68:69], v[148:149], v[46:47], v[68:69]      // 0000000043B4: D3B04044 1D125D94
	v_pk_fma_f32 v[70:71], v[150:151], v[46:47], v[70:71]      // 0000000043BC: D3B04046 1D1A5D96
	v_mul_f32_dpp v46, v22, v17 row_newbcast:1 row_mask:0xf bank_mask:0xf// 0000000043C4: 0A5C22FA FF015116
	v_mov_b32_e32 v47, v46                                     // 0000000043CC: 7E5E032E
	v_pk_fma_f32 v[72:73], v[152:153], v[46:47], v[72:73]      // 0000000043D0: D3B04048 1D225D98
	v_pk_fma_f32 v[74:75], v[154:155], v[46:47], v[74:75]      // 0000000043D8: D3B0404A 1D2A5D9A
	v_pk_fma_f32 v[76:77], v[156:157], v[46:47], v[76:77]      // 0000000043E0: D3B0404C 1D325D9C
	v_pk_fma_f32 v[78:79], v[158:159], v[46:47], v[78:79]      // 0000000043E8: D3B0404E 1D3A5D9E
	s_waitcnt vmcnt(4)                                         // 0000000043F0: BF8C0F74
	v_mfma_f32_16x16x128_f8f6f4 v[144:147], a[224:231], v[184:191], 0// 0000000043F4: D3AD0090 0A0371E0
	s_waitcnt lgkmcnt(0)                                       // 0000000043FC: BF8CC07F
	s_barrier                                                  // 000000004400: BF8A0000
	ds_read_b128 v[160:163], v2                                // 000000004404: D9FE0000 A0000002
	ds_read_b128 v[164:167], v2 offset:64                      // 00000000440C: D9FE0040 A4000002
	ds_read_b32 v15, v3 offset:4352                            // 000000004414: D86C1100 0F000003
	v_mfma_f32_16x16x128_f8f6f4 v[148:151], a[232:239], v[184:191], 0// 00000000441C: D3AD0094 0A0371E8
	buffer_load_dwordx4 a[96:99], v33, s[92:95], 0 offen offset:2048// 000000004424: E05C1800 80976021
	buffer_load_dwordx4 a[100:103], v33, s[92:95], 0 offen offset:3072// 00000000442C: E05C1C00 80976421
	buffer_load_dwordx4 a[104:107], v34, s[92:95], 0 offen offset:2048// 000000004434: E05C1800 80976822
	buffer_load_dwordx4 a[108:111], v34, s[92:95], 0 offen offset:3072// 00000000443C: E05C1C00 80976C22
	s_waitcnt vmcnt(4)                                         // 000000004444: BF8C0F74
	v_mfma_f32_16x16x128_f8f6f4 v[152:155], a[240:247], v[184:191], 0// 000000004448: D3AD0098 0A0371F0
	ds_read_b128 v[168:171], v2 offset:512                     // 000000004450: D9FE0200 A8000002
	ds_read_b128 v[172:175], v2 offset:576                     // 000000004458: D9FE0240 AC000002
	ds_read_b32 v16, v3 offset:4608                            // 000000004460: D86C1200 10000003
	v_mfma_f32_16x16x128_f8f6f4 v[156:159], a[248:255], v[184:191], 0// 000000004468: D3AD009C 0A0371F8
	buffer_load_dwordx4 a[112:115], v35, s[92:95], 0 offen offset:2048// 000000004470: E05C1800 80977023
	buffer_load_dwordx4 a[116:119], v35, s[92:95], 0 offen offset:3072// 000000004478: E05C1C00 80977423
	buffer_load_dwordx4 a[120:123], v36, s[92:95], 0 offen offset:2048// 000000004480: E05C1800 80977824
	buffer_load_dwordx4 a[124:127], v36, s[92:95], 0 offen offset:3072// 000000004488: E05C1C00 80977C24
	v_mul_f32_dpp v46, v22, v18 row_newbcast:2 row_mask:0xf bank_mask:0xf// 000000004490: 0A5C24FA FF015216
	v_mov_b32_e32 v47, v46                                     // 000000004498: 7E5E032E
	v_pk_fma_f32 v[64:65], v[144:145], v[46:47], v[64:65]      // 00000000449C: D3B04040 1D025D90
	v_pk_fma_f32 v[66:67], v[146:147], v[46:47], v[66:67]      // 0000000044A4: D3B04042 1D0A5D92
	v_pk_fma_f32 v[68:69], v[148:149], v[46:47], v[68:69]      // 0000000044AC: D3B04044 1D125D94
	v_pk_fma_f32 v[70:71], v[150:151], v[46:47], v[70:71]      // 0000000044B4: D3B04046 1D1A5D96
	v_mul_f32_dpp v46, v22, v18 row_newbcast:3 row_mask:0xf bank_mask:0xf// 0000000044BC: 0A5C24FA FF015316
	v_mov_b32_e32 v47, v46                                     // 0000000044C4: 7E5E032E
	v_pk_fma_f32 v[72:73], v[152:153], v[46:47], v[72:73]      // 0000000044C8: D3B04048 1D225D98
	v_pk_fma_f32 v[74:75], v[154:155], v[46:47], v[74:75]      // 0000000044D0: D3B0404A 1D2A5D9A
	v_pk_fma_f32 v[76:77], v[156:157], v[46:47], v[76:77]      // 0000000044D8: D3B0404C 1D325D9C
	v_pk_fma_f32 v[78:79], v[158:159], v[46:47], v[78:79]      // 0000000044E0: D3B0404E 1D3A5D9E
	s_add_u32 s60, 0x200, s80                                  // 0000000044E8: 803C50FF 00000200
	s_cmp_lt_u32 s60, s81                                      // 0000000044F0: BF0A513C
	s_cselect_b32 s57, s57, 0                                  // 0000000044F4: 85398039
	s_add_u32 s60, 0x200, s80                                  // 0000000044F8: 803C50FF 00000200
	s_cmp_lt_u32 s60, s81                                      // 000000004500: BF0A513C
	s_cselect_b32 s58, s58, 0                                  // 000000004504: 853A803A
	s_cselect_b32 s90, s90, 0                                  // 000000004508: 855A805A
	s_add_u32 s20, s57, s20                                    // 00000000450C: 80141439
	s_addc_u32 s21, 0, s21                                     // 000000004510: 82151580
	s_add_u32 s24, s58, s24                                    // 000000004514: 8018183A
	s_addc_u32 s25, 0, s25                                     // 000000004518: 82191980
	s_add_u32 s92, s90, s92                                    // 00000000451C: 805C5C5A
	s_addc_u32 s93, 0, s93                                     // 000000004520: 825D5D80
	s_addk_i32 s80, 0x100                                      // 000000004524: B7500100
	s_cmp_lt_i32 s80, s81                                      // 000000004528: BF045150
	s_cbranch_scc0 label_05CD                                  // 00000000452C: BF840001
	s_branch label_02EC                                        // 000000004530: BF82FD1F

0000000000004534 <label_05CD>:
	s_mov_b32 s20, 0                                           // 000000004534: BE940080
	s_cmp_lt_u32 s89, s66                                      // 000000004538: BF0A4259
	s_cselect_b32 s60, 0, 1                                    // 00000000453C: 853C8180
	s_lshl1_add_u32 s20, s20, s60                              // 000000004540: 97143C14
	s_cmp_lt_u32 s88, s66                                      // 000000004544: BF0A4258
	s_cselect_b32 s60, 0, 1                                    // 000000004548: 853C8180
	s_lshl1_add_u32 s20, s20, s60                              // 00000000454C: 97143C14
	s_cmp_lt_u32 s87, s66                                      // 000000004550: BF0A4257
	s_cselect_b32 s60, 0, 1                                    // 000000004554: 853C8180
	s_lshl1_add_u32 s20, s20, s60                              // 000000004558: 97143C14
	s_cmp_lt_u32 s86, s66                                      // 00000000455C: BF0A4256
	s_cselect_b32 s60, 0, 1                                    // 000000004560: 853C8180
	s_lshl1_add_u32 s20, s20, s60                              // 000000004564: 97143C14
	s_cmp_lt_u32 s85, s66                                      // 000000004568: BF0A4255
	s_cselect_b32 s60, 0, 1                                    // 00000000456C: 853C8180
	s_lshl1_add_u32 s20, s20, s60                              // 000000004570: 97143C14
	s_cmp_lt_u32 s84, s66                                      // 000000004574: BF0A4254
	s_cselect_b32 s60, 0, 1                                    // 000000004578: 853C8180
	s_lshl1_add_u32 s20, s20, s60                              // 00000000457C: 97143C14
	s_cmp_lt_u32 s83, s66                                      // 000000004580: BF0A4253
	s_cselect_b32 s60, 0, 1                                    // 000000004584: 853C8180
	s_lshl1_add_u32 s20, s20, s60                              // 000000004588: 97143C14
	s_cmp_lt_u32 s82, s66                                      // 00000000458C: BF0A4252
	s_cselect_b32 s60, 0, 1                                    // 000000004590: 853C8180
	s_lshl1_add_u32 s20, s20, s60                              // 000000004594: 97143C14
	s_waitcnt vmcnt(12)                                        // 000000004598: BF8C0F7C
	buffer_load_dword v19, v6, s[16:19], 0 offen               // 00000000459C: E0501000 80041306
	s_add_u32 s16, s79, s16                                    // 0000000045A4: 8010104F
	s_addc_u32 s17, 0, s17                                     // 0000000045A8: 82111180
	buffer_load_dwordx4 a[0:3], v37, s[12:15], 0 offen         // 0000000045AC: E05C1000 80830025
	buffer_load_dwordx4 a[4:7], v37, s[12:15], 0 offen offset:1024// 0000000045B4: E05C1400 80830425
	buffer_load_dwordx4 a[8:11], v38, s[12:15], 0 offen        // 0000000045BC: E05C1000 80830826
	buffer_load_dwordx4 a[12:15], v38, s[12:15], 0 offen offset:1024// 0000000045C4: E05C1400 80830C26
	v_mul_f32_e32 v46, v128, v128                              // 0000000045CC: 0A5D0180
	v_mul_f32_e32 v47, v129, v129                              // 0000000045D0: 0A5F0381
	v_mul_f32_e32 v48, v130, v130                              // 0000000045D4: 0A610582
	v_mul_f32_e32 v49, v131, v131                              // 0000000045D8: 0A630783
	v_fma_f32 v46, v46, s77, v1                                // 0000000045DC: D1CB002E 04049B2E
	v_fma_f32 v47, v47, s77, v1                                // 0000000045E4: D1CB002F 04049B2F
	v_fma_f32 v48, v48, s77, v1                                // 0000000045EC: D1CB0030 04049B30
	v_fma_f32 v49, v49, s77, v1                                // 0000000045F4: D1CB0031 04049B31
	v_mul_f32_e32 v46, v46, v128                               // 0000000045FC: 0A5D012E
	v_mul_f32_e32 v47, v47, v129                               // 000000004600: 0A5F032F
	v_mul_f32_e32 v48, v48, v130                               // 000000004604: 0A610530
	v_mul_f32_e32 v49, v49, v131                               // 000000004608: 0A630731
	v_mul_f32_e64 v46, v46, s6                                 // 00000000460C: D105002E 00000D2E
	v_mul_f32_e64 v47, v47, s6                                 // 000000004614: D105002F 00000D2F
	v_mul_f32_e64 v48, v48, s6                                 // 00000000461C: D1050030 00000D30
	v_mul_f32_e64 v49, v49, s6                                 // 000000004624: D1050031 00000D31
	v_exp_f32_e32 v46, v46                                     // 00000000462C: 7E5C412E
	v_exp_f32_e32 v47, v47                                     // 000000004630: 7E5E412F
	v_exp_f32_e32 v48, v48                                     // 000000004634: 7E604130
	v_exp_f32_e32 v49, v49                                     // 000000004638: 7E624131
	buffer_load_dwordx4 a[16:19], v39, s[12:15], 0 offen       // 00000000463C: E05C1000 80831027
	buffer_load_dwordx4 a[20:23], v39, s[12:15], 0 offen offset:1024// 000000004644: E05C1400 80831427
	buffer_load_dwordx4 a[24:27], v40, s[12:15], 0 offen       // 00000000464C: E05C1000 80831828
	buffer_load_dwordx4 a[28:31], v40, s[12:15], 0 offen offset:1024// 000000004654: E05C1400 80831C28
	s_add_u32 s12, s78, s12                                    // 00000000465C: 800C0C4E
	s_addc_u32 s13, 0, s13                                     // 000000004660: 820D0D80
	v_add_f32_e64 v46, v46, 1.0                                // 000000004664: D101002E 0001E52E
	v_add_f32_e64 v47, v47, 1.0                                // 00000000466C: D101002F 0001E52F
	v_add_f32_e64 v48, v48, 1.0                                // 000000004674: D1010030 0001E530
	v_add_f32_e64 v49, v49, 1.0                                // 00000000467C: D1010031 0001E531
	v_rcp_f32_e32 v46, v46                                     // 000000004684: 7E5C452E
	v_rcp_f32_e32 v47, v47                                     // 000000004688: 7E5E452F
	v_rcp_f32_e32 v48, v48                                     // 00000000468C: 7E604530
	v_rcp_f32_e32 v49, v49                                     // 000000004690: 7E624531
	v_mul_f32_e32 v128, v128, v46                              // 000000004694: 0B005D80
	v_mul_f32_e32 v129, v129, v47                              // 000000004698: 0B025F81
	v_mul_f32_e32 v130, v130, v48                              // 00000000469C: 0B046182
	v_mul_f32_e32 v131, v131, v49                              // 0000000046A0: 0B066383
	v_mul_f32_e32 v128, v128, v64                              // 0000000046A4: 0B008180
	v_mul_f32_e32 v129, v129, v65                              // 0000000046A8: 0B028381
	v_mul_f32_e32 v130, v130, v66                              // 0000000046AC: 0B048582
	v_mul_f32_e32 v131, v131, v67                              // 0000000046B0: 0B068783
	s_waitcnt vmcnt(12)                                        // 0000000046B4: BF8C0F7C
	buffer_load_dwordx4 a[32:35], v37, s[12:15], 0 offen       // 0000000046B8: E05C1000 80832025
	buffer_load_dwordx4 a[36:39], v37, s[12:15], 0 offen offset:1024// 0000000046C0: E05C1400 80832425
	buffer_load_dwordx4 a[40:43], v38, s[12:15], 0 offen       // 0000000046C8: E05C1000 80832826
	buffer_load_dwordx4 a[44:47], v38, s[12:15], 0 offen offset:1024// 0000000046D0: E05C1400 80832C26
	v_mul_f32_e32 v46, v132, v132                              // 0000000046D8: 0A5D0984
	v_mul_f32_e32 v47, v133, v133                              // 0000000046DC: 0A5F0B85
	v_mul_f32_e32 v48, v134, v134                              // 0000000046E0: 0A610D86
	v_mul_f32_e32 v49, v135, v135                              // 0000000046E4: 0A630F87
	v_fma_f32 v46, v46, s77, v1                                // 0000000046E8: D1CB002E 04049B2E
	v_fma_f32 v47, v47, s77, v1                                // 0000000046F0: D1CB002F 04049B2F
	v_fma_f32 v48, v48, s77, v1                                // 0000000046F8: D1CB0030 04049B30
	v_fma_f32 v49, v49, s77, v1                                // 000000004700: D1CB0031 04049B31
	v_mul_f32_e32 v46, v46, v132                               // 000000004708: 0A5D092E
	v_mul_f32_e32 v47, v47, v133                               // 00000000470C: 0A5F0B2F
	v_mul_f32_e32 v48, v48, v134                               // 000000004710: 0A610D30
	v_mul_f32_e32 v49, v49, v135                               // 000000004714: 0A630F31
	v_mul_f32_e64 v46, v46, s6                                 // 000000004718: D105002E 00000D2E
	v_mul_f32_e64 v47, v47, s6                                 // 000000004720: D105002F 00000D2F
	v_mul_f32_e64 v48, v48, s6                                 // 000000004728: D1050030 00000D30
	v_mul_f32_e64 v49, v49, s6                                 // 000000004730: D1050031 00000D31
	v_exp_f32_e32 v46, v46                                     // 000000004738: 7E5C412E
	v_exp_f32_e32 v47, v47                                     // 00000000473C: 7E5E412F
	v_exp_f32_e32 v48, v48                                     // 000000004740: 7E604130
	v_exp_f32_e32 v49, v49                                     // 000000004744: 7E624131
	buffer_load_dwordx4 a[48:51], v39, s[12:15], 0 offen       // 000000004748: E05C1000 80833027
	buffer_load_dwordx4 a[52:55], v39, s[12:15], 0 offen offset:1024// 000000004750: E05C1400 80833427
	buffer_load_dwordx4 a[56:59], v40, s[12:15], 0 offen       // 000000004758: E05C1000 80833828
	buffer_load_dwordx4 a[60:63], v40, s[12:15], 0 offen offset:1024// 000000004760: E05C1400 80833C28
	s_add_u32 s12, s56, s12                                    // 000000004768: 800C0C38
	s_addc_u32 s13, 0, s13                                     // 00000000476C: 820D0D80
	v_add_f32_e64 v46, v46, 1.0                                // 000000004770: D101002E 0001E52E
	v_add_f32_e64 v47, v47, 1.0                                // 000000004778: D101002F 0001E52F
	v_add_f32_e64 v48, v48, 1.0                                // 000000004780: D1010030 0001E530
	v_add_f32_e64 v49, v49, 1.0                                // 000000004788: D1010031 0001E531
	v_rcp_f32_e32 v46, v46                                     // 000000004790: 7E5C452E
	v_rcp_f32_e32 v47, v47                                     // 000000004794: 7E5E452F
	v_rcp_f32_e32 v48, v48                                     // 000000004798: 7E604530
	v_rcp_f32_e32 v49, v49                                     // 00000000479C: 7E624531
	v_mul_f32_e32 v132, v132, v46                              // 0000000047A0: 0B085D84
	v_mul_f32_e32 v133, v133, v47                              // 0000000047A4: 0B0A5F85
	v_mul_f32_e32 v134, v134, v48                              // 0000000047A8: 0B0C6186
	v_mul_f32_e32 v135, v135, v49                              // 0000000047AC: 0B0E6387
	v_mul_f32_e32 v132, v132, v68                              // 0000000047B0: 0B088984
	v_mul_f32_e32 v133, v133, v69                              // 0000000047B4: 0B0A8B85
	v_mul_f32_e32 v134, v134, v70                              // 0000000047B8: 0B0C8D86
	v_mul_f32_e32 v135, v135, v71                              // 0000000047BC: 0B0E8F87
	s_waitcnt vmcnt(12)                                        // 0000000047C0: BF8C0F7C
	buffer_load_dword v20, v6, s[16:19], 0 offen               // 0000000047C4: E0501000 80041406
	s_add_u32 s16, s79, s16                                    // 0000000047CC: 8010104F
	s_addc_u32 s17, 0, s17                                     // 0000000047D0: 82111180
	buffer_load_dwordx4 a[64:67], v37, s[12:15], 0 offen       // 0000000047D4: E05C1000 80834025
	buffer_load_dwordx4 a[68:71], v37, s[12:15], 0 offen offset:1024// 0000000047DC: E05C1400 80834425
	buffer_load_dwordx4 a[72:75], v38, s[12:15], 0 offen       // 0000000047E4: E05C1000 80834826
	buffer_load_dwordx4 a[76:79], v38, s[12:15], 0 offen offset:1024// 0000000047EC: E05C1400 80834C26
	v_mul_f32_e32 v46, v136, v136                              // 0000000047F4: 0A5D1188
	v_mul_f32_e32 v47, v137, v137                              // 0000000047F8: 0A5F1389
	v_mul_f32_e32 v48, v138, v138                              // 0000000047FC: 0A61158A
	v_mul_f32_e32 v49, v139, v139                              // 000000004800: 0A63178B
	v_fma_f32 v46, v46, s77, v1                                // 000000004804: D1CB002E 04049B2E
	v_fma_f32 v47, v47, s77, v1                                // 00000000480C: D1CB002F 04049B2F
	v_fma_f32 v48, v48, s77, v1                                // 000000004814: D1CB0030 04049B30
	v_fma_f32 v49, v49, s77, v1                                // 00000000481C: D1CB0031 04049B31
	v_mul_f32_e32 v46, v46, v136                               // 000000004824: 0A5D112E
	v_mul_f32_e32 v47, v47, v137                               // 000000004828: 0A5F132F
	v_mul_f32_e32 v48, v48, v138                               // 00000000482C: 0A611530
	v_mul_f32_e32 v49, v49, v139                               // 000000004830: 0A631731
	v_mul_f32_e64 v46, v46, s6                                 // 000000004834: D105002E 00000D2E
	v_mul_f32_e64 v47, v47, s6                                 // 00000000483C: D105002F 00000D2F
	v_mul_f32_e64 v48, v48, s6                                 // 000000004844: D1050030 00000D30
	v_mul_f32_e64 v49, v49, s6                                 // 00000000484C: D1050031 00000D31
	v_exp_f32_e32 v46, v46                                     // 000000004854: 7E5C412E
	v_exp_f32_e32 v47, v47                                     // 000000004858: 7E5E412F
	v_exp_f32_e32 v48, v48                                     // 00000000485C: 7E604130
	v_exp_f32_e32 v49, v49                                     // 000000004860: 7E624131
	buffer_load_dwordx4 a[80:83], v39, s[12:15], 0 offen       // 000000004864: E05C1000 80835027
	buffer_load_dwordx4 a[84:87], v39, s[12:15], 0 offen offset:1024// 00000000486C: E05C1400 80835427
	buffer_load_dwordx4 a[88:91], v40, s[12:15], 0 offen       // 000000004874: E05C1000 80835828
	buffer_load_dwordx4 a[92:95], v40, s[12:15], 0 offen offset:1024// 00000000487C: E05C1400 80835C28
	s_add_u32 s12, s78, s12                                    // 000000004884: 800C0C4E
	s_addc_u32 s13, 0, s13                                     // 000000004888: 820D0D80
	v_add_f32_e64 v46, v46, 1.0                                // 00000000488C: D101002E 0001E52E
	v_add_f32_e64 v47, v47, 1.0                                // 000000004894: D101002F 0001E52F
	v_add_f32_e64 v48, v48, 1.0                                // 00000000489C: D1010030 0001E530
	v_add_f32_e64 v49, v49, 1.0                                // 0000000048A4: D1010031 0001E531
	v_rcp_f32_e32 v46, v46                                     // 0000000048AC: 7E5C452E
	v_rcp_f32_e32 v47, v47                                     // 0000000048B0: 7E5E452F
	v_rcp_f32_e32 v48, v48                                     // 0000000048B4: 7E604530
	v_rcp_f32_e32 v49, v49                                     // 0000000048B8: 7E624531
	v_mul_f32_e32 v136, v136, v46                              // 0000000048BC: 0B105D88
	v_mul_f32_e32 v137, v137, v47                              // 0000000048C0: 0B125F89
	v_mul_f32_e32 v138, v138, v48                              // 0000000048C4: 0B14618A
	v_mul_f32_e32 v139, v139, v49                              // 0000000048C8: 0B16638B
	v_mul_f32_e32 v136, v136, v72                              // 0000000048CC: 0B109188
	v_mul_f32_e32 v137, v137, v73                              // 0000000048D0: 0B129389
	v_mul_f32_e32 v138, v138, v74                              // 0000000048D4: 0B14958A
	v_mul_f32_e32 v139, v139, v75                              // 0000000048D8: 0B16978B
	s_waitcnt vmcnt(12)                                        // 0000000048DC: BF8C0F7C
	buffer_load_dwordx4 a[96:99], v37, s[12:15], 0 offen       // 0000000048E0: E05C1000 80836025
	buffer_load_dwordx4 a[100:103], v37, s[12:15], 0 offen offset:1024// 0000000048E8: E05C1400 80836425
	buffer_load_dwordx4 a[104:107], v38, s[12:15], 0 offen     // 0000000048F0: E05C1000 80836826
	buffer_load_dwordx4 a[108:111], v38, s[12:15], 0 offen offset:1024// 0000000048F8: E05C1400 80836C26
	v_mul_f32_e32 v46, v140, v140                              // 000000004900: 0A5D198C
	v_mul_f32_e32 v47, v141, v141                              // 000000004904: 0A5F1B8D
	v_mul_f32_e32 v48, v142, v142                              // 000000004908: 0A611D8E
	v_mul_f32_e32 v49, v143, v143                              // 00000000490C: 0A631F8F
	v_fma_f32 v46, v46, s77, v1                                // 000000004910: D1CB002E 04049B2E
	v_fma_f32 v47, v47, s77, v1                                // 000000004918: D1CB002F 04049B2F
	v_fma_f32 v48, v48, s77, v1                                // 000000004920: D1CB0030 04049B30
	v_fma_f32 v49, v49, s77, v1                                // 000000004928: D1CB0031 04049B31
	v_mul_f32_e32 v46, v46, v140                               // 000000004930: 0A5D192E
	v_mul_f32_e32 v47, v47, v141                               // 000000004934: 0A5F1B2F
	v_mul_f32_e32 v48, v48, v142                               // 000000004938: 0A611D30
	v_mul_f32_e32 v49, v49, v143                               // 00000000493C: 0A631F31
	v_mul_f32_e64 v46, v46, s6                                 // 000000004940: D105002E 00000D2E
	v_mul_f32_e64 v47, v47, s6                                 // 000000004948: D105002F 00000D2F
	v_mul_f32_e64 v48, v48, s6                                 // 000000004950: D1050030 00000D30
	v_mul_f32_e64 v49, v49, s6                                 // 000000004958: D1050031 00000D31
	v_exp_f32_e32 v46, v46                                     // 000000004960: 7E5C412E
	v_exp_f32_e32 v47, v47                                     // 000000004964: 7E5E412F
	v_exp_f32_e32 v48, v48                                     // 000000004968: 7E604130
	v_exp_f32_e32 v49, v49                                     // 00000000496C: 7E624131
	buffer_load_dwordx4 a[112:115], v39, s[12:15], 0 offen     // 000000004970: E05C1000 80837027
	buffer_load_dwordx4 a[116:119], v39, s[12:15], 0 offen offset:1024// 000000004978: E05C1400 80837427
	buffer_load_dwordx4 a[120:123], v40, s[12:15], 0 offen     // 000000004980: E05C1000 80837828
	buffer_load_dwordx4 a[124:127], v40, s[12:15], 0 offen offset:1024// 000000004988: E05C1400 80837C28
	s_add_u32 s12, s56, s12                                    // 000000004990: 800C0C38
	s_addc_u32 s13, 0, s13                                     // 000000004994: 820D0D80
	v_add_f32_e64 v46, v46, 1.0                                // 000000004998: D101002E 0001E52E
	v_add_f32_e64 v47, v47, 1.0                                // 0000000049A0: D101002F 0001E52F
	v_add_f32_e64 v48, v48, 1.0                                // 0000000049A8: D1010030 0001E530
	v_add_f32_e64 v49, v49, 1.0                                // 0000000049B0: D1010031 0001E531
	v_rcp_f32_e32 v46, v46                                     // 0000000049B8: 7E5C452E
	v_rcp_f32_e32 v47, v47                                     // 0000000049BC: 7E5E452F
	v_rcp_f32_e32 v48, v48                                     // 0000000049C0: 7E604530
	v_rcp_f32_e32 v49, v49                                     // 0000000049C4: 7E624531
	v_mul_f32_e32 v140, v140, v46                              // 0000000049C8: 0B185D8C
	v_mul_f32_e32 v141, v141, v47                              // 0000000049CC: 0B1A5F8D
	v_mul_f32_e32 v142, v142, v48                              // 0000000049D0: 0B1C618E
	v_mul_f32_e32 v143, v143, v49                              // 0000000049D4: 0B1E638F
	v_mul_f32_e32 v140, v140, v76                              // 0000000049D8: 0B18998C
	v_mul_f32_e32 v141, v141, v77                              // 0000000049DC: 0B1A9B8D
	v_mul_f32_e32 v142, v142, v78                              // 0000000049E0: 0B1C9D8E
	v_mul_f32_e32 v143, v143, v79                              // 0000000049E4: 0B1E9F8F
	v_lshlrev_b32_e32 v46, 2, v0                               // 0000000049E8: 245C0082
	s_mul_i32 s60, s82, s71                                    // 0000000049EC: 923C4752
	v_add_u32_e64 v80, v46, s60                                // 0000000049F0: D1340050 0000792E
	v_mov_b32_e32 v81, 0                                       // 0000000049F8: 7EA20280
	s_mul_i32 s60, s83, s71                                    // 0000000049FC: 923C4753
	v_add_u32_e64 v82, v46, s60                                // 000000004A00: D1340052 0000792E
	v_mov_b32_e32 v83, 0                                       // 000000004A08: 7EA60280
	s_mul_i32 s60, s84, s71                                    // 000000004A0C: 923C4754
	v_add_u32_e64 v84, v46, s60                                // 000000004A10: D1340054 0000792E
	v_mov_b32_e32 v85, 0                                       // 000000004A18: 7EAA0280
	s_mul_i32 s60, s85, s71                                    // 000000004A1C: 923C4755
	v_add_u32_e64 v86, v46, s60                                // 000000004A20: D1340056 0000792E
	v_mov_b32_e32 v87, 0                                       // 000000004A28: 7EAE0280
	v_mov_b32_e32 v26, 0x358637bd                              // 000000004A2C: 7E3402FF 358637BD
	v_max3_f32 v26, |v128|, |v129|, v26                        // 000000004A34: D1D3031A 046B0380
	v_max3_f32 v26, |v130|, |v131|, v26                        // 000000004A3C: D1D3031A 046B0782
	v_max3_f32 v26, |v132|, |v133|, v26                        // 000000004A44: D1D3031A 046B0B84
	v_max3_f32 v26, |v134|, |v135|, v26                        // 000000004A4C: D1D3031A 046B0F86
	v_mov_b32_e32 v46, v26                                     // 000000004A54: 7E5C031A
	s_nop 1                                                    // 000000004A58: BF800001
	v_permlane32_swap_b32_e32 v46, v26                         // 000000004A5C: 7E5CB51A
	v_max_f32_e32 v26, v46, v26                                // 000000004A60: 1634352E
	v_mov_b32_e32 v46, v26                                     // 000000004A64: 7E5C031A
	s_nop 1                                                    // 000000004A68: BF800001
	v_permlane16_swap_b32_e32 v46, v26                         // 000000004A6C: 7E5CB31A
	v_max_f32_e32 v26, v46, v26                                // 000000004A70: 1634352E
	v_lshlrev_b32_e32 v46, 2, v0                               // 000000004A74: 245C0082
	s_mul_i32 s60, 64, s7                                      // 000000004A78: 923C07C0
	v_add_u32_e32 v46, s60, v46                                // 000000004A7C: 685C5C3C
	s_mov_b32 s60, 0xffff                                      // 000000004A80: BEBC00FF 0000FFFF
	s_mov_b32 s61, 0                                           // 000000004A88: BEBD0080
	s_mov_b64 exec, s[60:61]                                   // 000000004A8C: BEFE013C
	ds_write_b32 v46, v26 offset:10752                         // 000000004A90: D81A2A00 00001A2E
	s_mov_b32 s60, -1                                          // 000000004A98: BEBC00C1
	s_mov_b32 s61, -1                                          // 000000004A9C: BEBD00C1
	s_mov_b64 exec, s[60:61]                                   // 000000004AA0: BEFE013C
	s_waitcnt lgkmcnt(0)                                       // 000000004AA4: BF8CC07F
	s_barrier                                                  // 000000004AA8: BF8A0000
	v_lshlrev_b32_e32 v46, 2, v0                               // 000000004AAC: 245C0082
	ds_read_b32 v144, v46 offset:10752                         // 000000004AB0: D86C2A00 9000002E
	s_waitcnt lgkmcnt(0)                                       // 000000004AB8: BF8CC07F
	v_mov_b32_e32 v46, v144                                    // 000000004ABC: 7E5C0390
	s_nop 1                                                    // 000000004AC0: BF800001
	v_permlane32_swap_b32_e32 v46, v144                        // 000000004AC4: 7E5CB590
	v_max_f32_e32 v144, v46, v144                              // 000000004AC8: 1721212E
	v_mov_b32_e32 v46, v144                                    // 000000004ACC: 7E5C0390
	s_nop 1                                                    // 000000004AD0: BF800001
	v_permlane16_swap_b32_e32 v46, v144                        // 000000004AD4: 7E5CB390
	v_max_f32_e32 v144, v46, v144                              // 000000004AD8: 1721212E
	v_max_f32_e32 v26, v144, v26                               // 000000004ADC: 16343590
	v_rcp_f32_e32 v26, v26                                     // 000000004AE0: 7E34451A
	v_mov_b32_e32 v46, 0x43e00000                              // 000000004AE4: 7E5C02FF 43E00000
	v_mul_f32_e32 v26, v46, v26                                // 000000004AEC: 0A34352E
	v_mul_f32_e32 v128, v26, v128                              // 000000004AF0: 0B01011A
	v_mul_f32_e32 v129, v26, v129                              // 000000004AF4: 0B03031A
	v_mul_f32_e32 v130, v26, v130                              // 000000004AF8: 0B05051A
	v_mul_f32_e32 v131, v26, v131                              // 000000004AFC: 0B07071A
	v_cvt_pk_fp8_f32 v128, v128, v129                          // 000000004B00: D2A20080 00030380
	v_cvt_pk_fp8_f32 v128, v130, v131 op_sel:[0,0,1]           // 000000004B08: D2A24080 00030782
	v_mul_f32_e32 v132, v26, v132                              // 000000004B10: 0B09091A
	v_mul_f32_e32 v133, v26, v133                              // 000000004B14: 0B0B0B1A
	v_mul_f32_e32 v134, v26, v134                              // 000000004B18: 0B0D0D1A
	v_mul_f32_e32 v135, v26, v135                              // 000000004B1C: 0B0F0F1A
	v_cvt_pk_fp8_f32 v129, v132, v133                          // 000000004B20: D2A20081 00030B84
	v_cvt_pk_fp8_f32 v129, v134, v135 op_sel:[0,0,1]           // 000000004B28: D2A24081 00030F86
	v_rcp_f32_e32 v28, v26                                     // 000000004B30: 7E38451A
	v_nop                                                      // 000000004B34: 7E000000
	v_mov_b32_e32 v26, 0x358637bd                              // 000000004B38: 7E3402FF 358637BD
	v_max3_f32 v26, |v136|, |v137|, v26                        // 000000004B40: D1D3031A 046B1388
	v_max3_f32 v26, |v138|, |v139|, v26                        // 000000004B48: D1D3031A 046B178A
	v_max3_f32 v26, |v140|, |v141|, v26                        // 000000004B50: D1D3031A 046B1B8C
	v_max3_f32 v26, |v142|, |v143|, v26                        // 000000004B58: D1D3031A 046B1F8E
	v_mov_b32_e32 v46, v26                                     // 000000004B60: 7E5C031A
	s_nop 1                                                    // 000000004B64: BF800001
	v_permlane32_swap_b32_e32 v46, v26                         // 000000004B68: 7E5CB51A
	v_max_f32_e32 v26, v46, v26                                // 000000004B6C: 1634352E
	v_mov_b32_e32 v46, v26                                     // 000000004B70: 7E5C031A
	s_nop 1                                                    // 000000004B74: BF800001
	v_permlane16_swap_b32_e32 v46, v26                         // 000000004B78: 7E5CB31A
	v_max_f32_e32 v26, v46, v26                                // 000000004B7C: 1634352E
	v_lshlrev_b32_e32 v46, 2, v0                               // 000000004B80: 245C0082
	s_mul_i32 s60, 64, s7                                      // 000000004B84: 923C07C0
	v_add_u32_e32 v46, s60, v46                                // 000000004B88: 685C5C3C
	s_mov_b32 s60, 0xffff                                      // 000000004B8C: BEBC00FF 0000FFFF
	s_mov_b32 s61, 0                                           // 000000004B94: BEBD0080
	s_mov_b64 exec, s[60:61]                                   // 000000004B98: BEFE013C
	ds_write_b32 v46, v26 offset:10752                         // 000000004B9C: D81A2A00 00001A2E
	s_mov_b32 s60, -1                                          // 000000004BA4: BEBC00C1
	s_mov_b32 s61, -1                                          // 000000004BA8: BEBD00C1
	s_mov_b64 exec, s[60:61]                                   // 000000004BAC: BEFE013C
	s_waitcnt lgkmcnt(0)                                       // 000000004BB0: BF8CC07F
	s_barrier                                                  // 000000004BB4: BF8A0000
	v_lshlrev_b32_e32 v46, 2, v0                               // 000000004BB8: 245C0082
	ds_read_b32 v144, v46 offset:10752                         // 000000004BBC: D86C2A00 9000002E
	s_waitcnt lgkmcnt(0)                                       // 000000004BC4: BF8CC07F
	v_mov_b32_e32 v46, v144                                    // 000000004BC8: 7E5C0390
	s_nop 1                                                    // 000000004BCC: BF800001
	v_permlane32_swap_b32_e32 v46, v144                        // 000000004BD0: 7E5CB590
	v_max_f32_e32 v144, v46, v144                              // 000000004BD4: 1721212E
	v_mov_b32_e32 v46, v144                                    // 000000004BD8: 7E5C0390
	s_nop 1                                                    // 000000004BDC: BF800001
	v_permlane16_swap_b32_e32 v46, v144                        // 000000004BE0: 7E5CB390
	v_max_f32_e32 v144, v46, v144                              // 000000004BE4: 1721212E
	v_max_f32_e32 v26, v144, v26                               // 000000004BE8: 16343590
	v_rcp_f32_e32 v26, v26                                     // 000000004BEC: 7E34451A
	v_mov_b32_e32 v46, 0x43e00000                              // 000000004BF0: 7E5C02FF 43E00000
	v_mul_f32_e32 v26, v46, v26                                // 000000004BF8: 0A34352E
	v_mul_f32_e32 v136, v26, v136                              // 000000004BFC: 0B11111A
	v_mul_f32_e32 v137, v26, v137                              // 000000004C00: 0B13131A
	v_mul_f32_e32 v138, v26, v138                              // 000000004C04: 0B15151A
	v_mul_f32_e32 v139, v26, v139                              // 000000004C08: 0B17171A
	v_cvt_pk_fp8_f32 v130, v136, v137                          // 000000004C0C: D2A20082 00031388
	v_cvt_pk_fp8_f32 v130, v138, v139 op_sel:[0,0,1]           // 000000004C14: D2A24082 0003178A
	v_mul_f32_e32 v140, v26, v140                              // 000000004C1C: 0B19191A
	v_mul_f32_e32 v141, v26, v141                              // 000000004C20: 0B1B1B1A
	v_mul_f32_e32 v142, v26, v142                              // 000000004C24: 0B1D1D1A
	v_mul_f32_e32 v143, v26, v143                              // 000000004C28: 0B1F1F1A
	v_cvt_pk_fp8_f32 v131, v140, v141                          // 000000004C2C: D2A20083 00031B8C
	v_cvt_pk_fp8_f32 v131, v142, v143 op_sel:[0,0,1]           // 000000004C34: D2A24083 00031F8E
	v_rcp_f32_e32 v29, v26                                     // 000000004C3C: 7E3A451A
	v_nop                                                      // 000000004C40: 7E000000
	v_lshrrev_b32_e32 v46, 5, v0                               // 000000004C44: 205C0085
	v_lshlrev_b32_e32 v47, 6, v46                              // 000000004C48: 245E5C86
	v_and_b32_e32 v46, 31, v0                                  // 000000004C4C: 265C009F
	v_lshrrev_b32_e32 v48, 4, v46                              // 000000004C50: 20605C84
	v_add_u32_e32 v47, v48, v47                                // 000000004C54: 685E5F30
	v_and_b32_e32 v46, 15, v0                                  // 000000004C58: 265C008F
	v_lshlrev_b32_e32 v46, 1, v46                              // 000000004C5C: 245C5C81
	v_add_u32_e32 v47, v46, v47                                // 000000004C60: 685E5F2E
	v_lshlrev_b32_e32 v46, 2, v47                              // 000000004C64: 245C5E82
	s_mov_b32 s60, 0                                           // 000000004C68: BEBC0080
	s_lshr_b32 s61, s7, 1                                      // 000000004C6C: 8F3D8107
	s_mul_i32 s61, s61, 0x200                                  // 000000004C70: 923DFF3D 00000200
	s_add_u32 s60, s61, s60                                    // 000000004C78: 803C3C3D
	s_and_b32 s61, s7, 1                                       // 000000004C7C: 863D8107
	s_mul_i32 s61, s61, 0x80                                   // 000000004C80: 923DFF3D 00000080
	s_add_u32 s60, s61, s60                                    // 000000004C88: 803C3C3D
	v_add_u32_e64 v46, v46, s60                                // 000000004C8C: D134002E 0000792E
	ds_write_b32 v46, v128 offset:11776                        // 000000004C94: D81A2E00 0000802E
	ds_write_b32 v46, v129 offset:12800                        // 000000004C9C: D81A3200 0000812E
	ds_write_b32 v46, v130 offset:13824                        // 000000004CA4: D81A3600 0000822E
	ds_write_b32 v46, v131 offset:14848                        // 000000004CAC: D81A3A00 0000832E
	s_waitcnt lgkmcnt(0)                                       // 000000004CB4: BF8CC07F
	s_barrier                                                  // 000000004CB8: BF8A0000
	v_and_b32_e32 v46, 31, v0                                  // 000000004CBC: 265C009F
	v_lshrrev_b32_e32 v46, 4, v46                              // 000000004CC0: 205C5C84
	v_lshlrev_b32_e32 v47, 5, v46                              // 000000004CC4: 245E5C85
	v_lshrrev_b32_e32 v46, 5, v0                               // 000000004CC8: 205C0085
	v_lshlrev_b32_e32 v46, 7, v46                              // 000000004CCC: 245C5C87
	v_add_u32_e32 v47, v46, v47                                // 000000004CD0: 685E5F2E
	v_and_b32_e32 v46, 15, v0                                  // 000000004CD4: 265C008F
	v_lshlrev_b32_e32 v46, 1, v46                              // 000000004CD8: 245C5C81
	v_add_u32_e32 v47, v46, v47                                // 000000004CDC: 685E5F2E
	v_lshlrev_b32_e32 v46, 2, v47                              // 000000004CE0: 245C5E82
	ds_read_b64 v[128:129], v46 offset:11776                   // 000000004CE4: D8EC2E00 8000002E
	ds_read_b64 v[130:131], v46 offset:12032                   // 000000004CEC: D8EC2F00 8200002E
	ds_read_b64 v[132:133], v46 offset:12800                   // 000000004CF4: D8EC3200 8400002E
	ds_read_b64 v[134:135], v46 offset:13056                   // 000000004CFC: D8EC3300 8600002E
	ds_read_b64 v[136:137], v46 offset:13824                   // 000000004D04: D8EC3600 8800002E
	ds_read_b64 v[138:139], v46 offset:14080                   // 000000004D0C: D8EC3700 8A00002E
	ds_read_b64 v[140:141], v46 offset:14848                   // 000000004D14: D8EC3A00 8C00002E
	ds_read_b64 v[142:143], v46 offset:15104                   // 000000004D1C: D8EC3B00 8E00002E
	s_waitcnt lgkmcnt(0)                                       // 000000004D24: BF8CC07F
	s_barrier                                                  // 000000004D28: BF8A0000
	v_mov_b32_e32 v160, 0                                      // 000000004D2C: 7F400280
	v_mov_b32_e32 v176, 0                                      // 000000004D30: 7F600280
	v_mov_b32_e32 v161, 0                                      // 000000004D34: 7F420280
	v_mov_b32_e32 v177, 0                                      // 000000004D38: 7F620280
	v_mov_b32_e32 v162, 0                                      // 000000004D3C: 7F440280
	v_mov_b32_e32 v178, 0                                      // 000000004D40: 7F640280
	v_mov_b32_e32 v163, 0                                      // 000000004D44: 7F460280
	v_mov_b32_e32 v179, 0                                      // 000000004D48: 7F660280
	v_mov_b32_e32 v164, 0                                      // 000000004D4C: 7F480280
	v_mov_b32_e32 v180, 0                                      // 000000004D50: 7F680280
	v_mov_b32_e32 v165, 0                                      // 000000004D54: 7F4A0280
	v_mov_b32_e32 v181, 0                                      // 000000004D58: 7F6A0280
	v_mov_b32_e32 v166, 0                                      // 000000004D5C: 7F4C0280
	v_mov_b32_e32 v182, 0                                      // 000000004D60: 7F6C0280
	v_mov_b32_e32 v167, 0                                      // 000000004D64: 7F4E0280
	v_mov_b32_e32 v183, 0                                      // 000000004D68: 7F6E0280
	v_mov_b32_e32 v168, 0                                      // 000000004D6C: 7F500280
	v_mov_b32_e32 v184, 0                                      // 000000004D70: 7F700280
	v_mov_b32_e32 v169, 0                                      // 000000004D74: 7F520280
	v_mov_b32_e32 v185, 0                                      // 000000004D78: 7F720280
	v_mov_b32_e32 v170, 0                                      // 000000004D7C: 7F540280
	v_mov_b32_e32 v186, 0                                      // 000000004D80: 7F740280
	v_mov_b32_e32 v171, 0                                      // 000000004D84: 7F560280
	v_mov_b32_e32 v187, 0                                      // 000000004D88: 7F760280
	v_mov_b32_e32 v172, 0                                      // 000000004D8C: 7F580280
	v_mov_b32_e32 v188, 0                                      // 000000004D90: 7F780280
	v_mov_b32_e32 v173, 0                                      // 000000004D94: 7F5A0280
	v_mov_b32_e32 v189, 0                                      // 000000004D98: 7F7A0280
	v_mov_b32_e32 v174, 0                                      // 000000004D9C: 7F5C0280
	v_mov_b32_e32 v190, 0                                      // 000000004DA0: 7F7C0280
	v_mov_b32_e32 v175, 0                                      // 000000004DA4: 7F5E0280
	v_mov_b32_e32 v191, 0                                      // 000000004DA8: 7F7E0280
	ds_write_b64 v4, v[160:161] offset:11776                   // 000000004DAC: D89A2E00 0000A004
	ds_write_b64 v4, v[162:163] offset:13952                   // 000000004DB4: D89A3680 0000A204
	ds_write_b64 v4, v[164:165] offset:16128                   // 000000004DBC: D89A3F00 0000A404
	ds_write_b64 v4, v[166:167] offset:18304                   // 000000004DC4: D89A4780 0000A604
	s_mov_b32 s80, 0                                           // 000000004DCC: BED00080

0000000000004dd0 <label_07F4>:
	s_waitcnt vmcnt(29) lgkmcnt(0)                             // 000000004DD0: BF8C407D
	s_barrier                                                  // 000000004DD4: BF8A0000
	v_mfma_f32_16x16x128_f8f6f4 v[160:163], a[0:7], v[128:135], 0// 000000004DD8: D3AD00A0 0A030100
	ds_read_b32 v64, v5 offset:11776                           // 000000004DE0: D86C2E00 40000005
	ds_read_b32 v65, v5 offset:16128                           // 000000004DE8: D86C3F00 41000005
	ds_read_b32 v66, v5 offset:11784                           // 000000004DF0: D86C2E08 42000005
	ds_read_b32 v67, v5 offset:16136                           // 000000004DF8: D86C3F08 43000005
	ds_read_b32 v68, v5 offset:11808                           // 000000004E00: D86C2E20 44000005
	ds_read_b32 v69, v5 offset:16160                           // 000000004E08: D86C3F20 45000005
	ds_read_b32 v70, v5 offset:11816                           // 000000004E10: D86C2E28 46000005
	ds_read_b32 v71, v5 offset:16168                           // 000000004E18: D86C3F28 47000005
	v_mfma_f32_16x16x128_f8f6f4 v[164:167], a[8:15], v[128:135], 0// 000000004E20: D3AD00A4 0A030108
	buffer_load_dword v21, v6, s[16:19], 0 offen               // 000000004E28: E0501000 80041506
	buffer_load_dwordx4 a[128:131], v37, s[12:15], 0 offen     // 000000004E30: E05C1000 80838025
	buffer_load_dwordx4 a[132:135], v37, s[12:15], 0 offen offset:1024// 000000004E38: E05C1400 80838425
	buffer_load_dwordx4 a[136:139], v38, s[12:15], 0 offen     // 000000004E40: E05C1000 80838826
	buffer_load_dwordx4 a[140:143], v38, s[12:15], 0 offen offset:1024// 000000004E48: E05C1400 80838C26
	s_waitcnt vmcnt(29)                                        // 000000004E50: BF8C4F7D
	v_mfma_f32_16x16x128_f8f6f4 v[168:171], a[16:23], v[128:135], 0// 000000004E54: D3AD00A8 0A030110
	v_mfma_f32_16x16x128_f8f6f4 v[172:175], a[24:31], v[128:135], 0// 000000004E5C: D3AD00AC 0A030118
	buffer_load_dwordx4 a[144:147], v39, s[12:15], 0 offen     // 000000004E64: E05C1000 80839027
	buffer_load_dwordx4 a[148:151], v39, s[12:15], 0 offen offset:1024// 000000004E6C: E05C1400 80839427
	buffer_load_dwordx4 a[152:155], v40, s[12:15], 0 offen     // 000000004E74: E05C1000 80839828
	buffer_load_dwordx4 a[156:159], v40, s[12:15], 0 offen offset:1024// 000000004E7C: E05C1400 80839C28
	s_add_u32 s12, s78, s12                                    // 000000004E84: 800C0C4E
	s_addc_u32 s13, 0, s13                                     // 000000004E88: 820D0D80
	v_mul_f32_dpp v46, v19, v28 row_newbcast:0 row_mask:0xf bank_mask:0xf// 000000004E8C: 0A5C38FA FF015013
	v_mov_b32_e32 v47, v46                                     // 000000004E94: 7E5E032E
	v_pk_mul_f32 v[160:161], v[46:47], v[160:161]              // 000000004E98: D3B140A0 1803412E
	v_pk_mul_f32 v[162:163], v[46:47], v[162:163]              // 000000004EA0: D3B140A2 1803452E
	v_pk_mul_f32 v[164:165], v[46:47], v[164:165]              // 000000004EA8: D3B140A4 1803492E
	v_pk_mul_f32 v[166:167], v[46:47], v[166:167]              // 000000004EB0: D3B140A6 18034D2E
	v_mul_f32_dpp v46, v19, v28 row_newbcast:1 row_mask:0xf bank_mask:0xf// 000000004EB8: 0A5C38FA FF015113
	v_mov_b32_e32 v47, v46                                     // 000000004EC0: 7E5E032E
	v_pk_mul_f32 v[168:169], v[46:47], v[168:169]              // 000000004EC4: D3B140A8 1803512E
	v_pk_mul_f32 v[170:171], v[46:47], v[170:171]              // 000000004ECC: D3B140AA 1803552E
	v_pk_mul_f32 v[172:173], v[46:47], v[172:173]              // 000000004ED4: D3B140AC 1803592E
	v_pk_mul_f32 v[174:175], v[46:47], v[174:175]              // 000000004EDC: D3B140AE 18035D2E
	s_waitcnt vmcnt(29)                                        // 000000004EE4: BF8C4F7D
	v_mfma_f32_16x16x128_f8f6f4 v[144:147], a[32:39], v[136:143], 0// 000000004EE8: D3AD0090 0A031120
	ds_write_b64 v4, v[176:177] offset:29184                   // 000000004EF0: D89A7200 0000B004
	ds_write_b64 v4, v[178:179] offset:31360                   // 000000004EF8: D89A7A80 0000B204
	ds_write_b64 v4, v[180:181] offset:33536                   // 000000004F00: D89A8300 0000B404
	ds_write_b64 v4, v[182:183] offset:35712                   // 000000004F08: D89A8B80 0000B604
	v_mfma_f32_16x16x128_f8f6f4 v[148:151], a[40:47], v[136:143], 0// 000000004F10: D3AD0094 0A031128
	buffer_load_dwordx4 a[160:163], v37, s[12:15], 0 offen     // 000000004F18: E05C1000 8083A025
	buffer_load_dwordx4 a[164:167], v37, s[12:15], 0 offen offset:1024// 000000004F20: E05C1400 8083A425
	buffer_load_dwordx4 a[168:171], v38, s[12:15], 0 offen     // 000000004F28: E05C1000 8083A826
	buffer_load_dwordx4 a[172:175], v38, s[12:15], 0 offen offset:1024// 000000004F30: E05C1400 8083AC26
	s_waitcnt vmcnt(29)                                        // 000000004F38: BF8C4F7D
	v_mfma_f32_16x16x128_f8f6f4 v[152:155], a[48:55], v[136:143], 0// 000000004F3C: D3AD0098 0A031130
	v_mfma_f32_16x16x128_f8f6f4 v[156:159], a[56:63], v[136:143], 0// 000000004F44: D3AD009C 0A031138
	buffer_load_dwordx4 a[176:179], v39, s[12:15], 0 offen     // 000000004F4C: E05C1000 8083B027
	buffer_load_dwordx4 a[180:183], v39, s[12:15], 0 offen offset:1024// 000000004F54: E05C1400 8083B427
	buffer_load_dwordx4 a[184:187], v40, s[12:15], 0 offen     // 000000004F5C: E05C1000 8083B828
	buffer_load_dwordx4 a[188:191], v40, s[12:15], 0 offen offset:1024// 000000004F64: E05C1400 8083BC28
	v_mul_f32_dpp v46, v19, v29 row_newbcast:2 row_mask:0xf bank_mask:0xf// 000000004F6C: 0A5C3AFA FF015213
	v_mov_b32_e32 v47, v46                                     // 000000004F74: 7E5E032E
	v_pk_fma_f32 v[160:161], v[144:145], v[46:47], v[160:161]  // 000000004F78: D3B040A0 1E825D90
	v_pk_fma_f32 v[162:163], v[146:147], v[46:47], v[162:163]  // 000000004F80: D3B040A2 1E8A5D92
	v_pk_fma_f32 v[164:165], v[148:149], v[46:47], v[164:165]  // 000000004F88: D3B040A4 1E925D94
	v_pk_fma_f32 v[166:167], v[150:151], v[46:47], v[166:167]  // 000000004F90: D3B040A6 1E9A5D96
	v_mul_f32_dpp v46, v19, v29 row_newbcast:3 row_mask:0xf bank_mask:0xf// 000000004F98: 0A5C3AFA FF015313
	v_mov_b32_e32 v47, v46                                     // 000000004FA0: 7E5E032E
	v_pk_fma_f32 v[168:169], v[152:153], v[46:47], v[168:169]  // 000000004FA4: D3B040A8 1EA25D98
	v_pk_fma_f32 v[170:171], v[154:155], v[46:47], v[170:171]  // 000000004FAC: D3B040AA 1EAA5D9A
	v_pk_fma_f32 v[172:173], v[156:157], v[46:47], v[172:173]  // 000000004FB4: D3B040AC 1EB25D9C
	v_pk_fma_f32 v[174:175], v[158:159], v[46:47], v[174:175]  // 000000004FBC: D3B040AE 1EBA5D9E
	s_add_u32 s60, 0x300, s80                                  // 000000004FC4: 803C50FF 00000300
	s_cmp_lt_u32 s60, s81                                      // 000000004FCC: BF0A513C
	s_cselect_b32 s56, s56, 0                                  // 000000004FD0: 85388038
	s_cselect_b32 s78, s78, 0                                  // 000000004FD4: 854E804E
	s_cselect_b32 s79, s79, 0                                  // 000000004FD8: 854F804F
	s_add_u32 s12, s56, s12                                    // 000000004FDC: 800C0C38
	s_addc_u32 s13, 0, s13                                     // 000000004FE0: 820D0D80
	s_add_u32 s16, s79, s16                                    // 000000004FE4: 8010104F
	s_addc_u32 s17, 0, s17                                     // 000000004FE8: 82111180
	v_mov_b32_e32 v46, v23                                     // 000000004FEC: 7E5C0317
	v_mov_b32_e32 v47, v23                                     // 000000004FF0: 7E5E0317
	v_pk_mul_f32 v[160:161], v[46:47], v[160:161]              // 000000004FF4: D3B140A0 1803412E
	v_pk_mul_f32 v[162:163], v[46:47], v[162:163]              // 000000004FFC: D3B140A2 1803452E
	v_pk_mul_f32 v[164:165], v[46:47], v[164:165]              // 000000005004: D3B140A4 1803492E
	v_pk_mul_f32 v[166:167], v[46:47], v[166:167]              // 00000000500C: D3B140A6 18034D2E
	v_pk_mul_f32 v[168:169], v[46:47], v[168:169]              // 000000005014: D3B140A8 1803512E
	v_pk_mul_f32 v[170:171], v[46:47], v[170:171]              // 00000000501C: D3B140AA 1803552E
	v_pk_mul_f32 v[172:173], v[46:47], v[172:173]              // 000000005024: D3B140AC 1803592E
	v_pk_mul_f32 v[174:175], v[46:47], v[174:175]              // 00000000502C: D3B140AE 18035D2E
	v_cvt_pk_bf16_f32 v160, v160, v161                         // 000000005034: D26800A0 000343A0
	v_cvt_pk_bf16_f32 v161, v162, v163                         // 00000000503C: D26800A1 000347A2
	v_cvt_pk_bf16_f32 v162, v164, v165                         // 000000005044: D26800A2 00034BA4
	v_cvt_pk_bf16_f32 v163, v166, v167                         // 00000000504C: D26800A3 00034FA6
	v_cvt_pk_bf16_f32 v164, v168, v169                         // 000000005054: D26800A4 000353A8
	v_cvt_pk_bf16_f32 v165, v170, v171                         // 00000000505C: D26800A5 000357AA
	v_cvt_pk_bf16_f32 v166, v172, v173                         // 000000005064: D26800A6 00035BAC
	v_cvt_pk_bf16_f32 v167, v174, v175                         // 00000000506C: D26800A7 00035FAE
	s_cmp_ge_u32 s80, 0x200                                    // 000000005074: BF09FF50 00000200
	s_cselect_b32 s59, 0x200, s59                              // 00000000507C: 853B3BFF 00000200
	s_waitcnt lgkmcnt(0)                                       // 000000005084: BF8CC07F
	s_barrier                                                  // 000000005088: BF8A0000
	s_setvskip s20, 0                                          // 00000000508C: BF108014
	global_atomic_pk_add_bf16 v80, v64, s[8:9]                 // 000000005090: DD488000 00084050
	s_setvskip 0, 0                                            // 000000005098: BF108080
	s_setvskip s20, 0                                          // 00000000509C: BF108014
	global_atomic_pk_add_bf16 v80, v65, s[8:9] offset:256      // 0000000050A0: DD488100 00084150
	s_setvskip 0, 0                                            // 0000000050A8: BF108080
	s_setvskip s20, 1                                          // 0000000050AC: BF108114
	global_atomic_pk_add_bf16 v82, v66, s[8:9]                 // 0000000050B0: DD488000 00084252
	s_setvskip 0, 0                                            // 0000000050B8: BF108080
	s_setvskip s20, 1                                          // 0000000050BC: BF108114
	global_atomic_pk_add_bf16 v82, v67, s[8:9] offset:256      // 0000000050C0: DD488100 00084352
	s_setvskip 0, 0                                            // 0000000050C8: BF108080
	s_setvskip s20, 2                                          // 0000000050CC: BF108214
	global_atomic_pk_add_bf16 v84, v68, s[8:9]                 // 0000000050D0: DD488000 00084454
	s_setvskip 0, 0                                            // 0000000050D8: BF108080
	s_setvskip s20, 2                                          // 0000000050DC: BF108214
	global_atomic_pk_add_bf16 v84, v69, s[8:9] offset:256      // 0000000050E0: DD488100 00084554
	s_setvskip 0, 0                                            // 0000000050E8: BF108080
	s_setvskip s20, 3                                          // 0000000050EC: BF108314
	global_atomic_pk_add_bf16 v86, v70, s[8:9]                 // 0000000050F0: DD488000 00084656
	s_setvskip 0, 0                                            // 0000000050F8: BF108080
	s_setvskip s20, 3                                          // 0000000050FC: BF108314
	global_atomic_pk_add_bf16 v86, v71, s[8:9] offset:256      // 000000005100: DD488100 00084756
	s_setvskip 0, 0                                            // 000000005108: BF108080
	s_add_u32 s8, s59, s8                                      // 00000000510C: 8008083B
	s_addc_u32 s9, 0, s9                                       // 000000005110: 82090980
	s_addk_i32 s80, 0x100                                      // 000000005114: B7500100
	s_cmp_lt_i32 s80, s81                                      // 000000005118: BF045150
	s_cbranch_scc0 label_0CED                                  // 00000000511C: BF840425
	s_waitcnt vmcnt(29) lgkmcnt(0)                             // 000000005120: BF8C407D
	s_barrier                                                  // 000000005124: BF8A0000
	v_mfma_f32_16x16x128_f8f6f4 v[176:179], a[64:71], v[128:135], 0// 000000005128: D3AD00B0 0A030140
	ds_read_b32 v64, v5 offset:29184                           // 000000005130: D86C7200 40000005
	ds_read_b32 v65, v5 offset:33536                           // 000000005138: D86C8300 41000005
	ds_read_b32 v66, v5 offset:29192                           // 000000005140: D86C7208 42000005
	ds_read_b32 v67, v5 offset:33544                           // 000000005148: D86C8308 43000005
	ds_read_b32 v68, v5 offset:29216                           // 000000005150: D86C7220 44000005
	ds_read_b32 v69, v5 offset:33568                           // 000000005158: D86C8320 45000005
	ds_read_b32 v70, v5 offset:29224                           // 000000005160: D86C7228 46000005
	ds_read_b32 v71, v5 offset:33576                           // 000000005168: D86C8328 47000005
	v_mfma_f32_16x16x128_f8f6f4 v[180:183], a[72:79], v[128:135], 0// 000000005170: D3AD00B4 0A030148
	buffer_load_dword v19, v6, s[16:19], 0 offen               // 000000005178: E0501000 80041306
	buffer_load_dwordx4 a[0:3], v37, s[12:15], 0 offen         // 000000005180: E05C1000 80830025
	buffer_load_dwordx4 a[4:7], v37, s[12:15], 0 offen offset:1024// 000000005188: E05C1400 80830425
	buffer_load_dwordx4 a[8:11], v38, s[12:15], 0 offen        // 000000005190: E05C1000 80830826
	buffer_load_dwordx4 a[12:15], v38, s[12:15], 0 offen offset:1024// 000000005198: E05C1400 80830C26
	s_waitcnt vmcnt(29)                                        // 0000000051A0: BF8C4F7D
	v_mfma_f32_16x16x128_f8f6f4 v[184:187], a[80:87], v[128:135], 0// 0000000051A4: D3AD00B8 0A030150
	v_mfma_f32_16x16x128_f8f6f4 v[188:191], a[88:95], v[128:135], 0// 0000000051AC: D3AD00BC 0A030158
	buffer_load_dwordx4 a[16:19], v39, s[12:15], 0 offen       // 0000000051B4: E05C1000 80831027
	buffer_load_dwordx4 a[20:23], v39, s[12:15], 0 offen offset:1024// 0000000051BC: E05C1400 80831427
	buffer_load_dwordx4 a[24:27], v40, s[12:15], 0 offen       // 0000000051C4: E05C1000 80831828
	buffer_load_dwordx4 a[28:31], v40, s[12:15], 0 offen offset:1024// 0000000051CC: E05C1400 80831C28
	s_add_u32 s12, s78, s12                                    // 0000000051D4: 800C0C4E
	s_addc_u32 s13, 0, s13                                     // 0000000051D8: 820D0D80
	v_mul_f32_dpp v46, v20, v28 row_newbcast:0 row_mask:0xf bank_mask:0xf// 0000000051DC: 0A5C38FA FF015014
	v_mov_b32_e32 v47, v46                                     // 0000000051E4: 7E5E032E
	v_pk_mul_f32 v[176:177], v[46:47], v[176:177]              // 0000000051E8: D3B140B0 1803612E
	v_pk_mul_f32 v[178:179], v[46:47], v[178:179]              // 0000000051F0: D3B140B2 1803652E
	v_pk_mul_f32 v[180:181], v[46:47], v[180:181]              // 0000000051F8: D3B140B4 1803692E
	v_pk_mul_f32 v[182:183], v[46:47], v[182:183]              // 000000005200: D3B140B6 18036D2E
	v_mul_f32_dpp v46, v20, v28 row_newbcast:1 row_mask:0xf bank_mask:0xf// 000000005208: 0A5C38FA FF015114
	v_mov_b32_e32 v47, v46                                     // 000000005210: 7E5E032E
	v_pk_mul_f32 v[184:185], v[46:47], v[184:185]              // 000000005214: D3B140B8 1803712E
	v_pk_mul_f32 v[186:187], v[46:47], v[186:187]              // 00000000521C: D3B140BA 1803752E
	v_pk_mul_f32 v[188:189], v[46:47], v[188:189]              // 000000005224: D3B140BC 1803792E
	v_pk_mul_f32 v[190:191], v[46:47], v[190:191]              // 00000000522C: D3B140BE 18037D2E
	s_waitcnt vmcnt(29)                                        // 000000005234: BF8C4F7D
	v_mfma_f32_16x16x128_f8f6f4 v[144:147], a[96:103], v[136:143], 0// 000000005238: D3AD0090 0A031160
	ds_write_b64 v4, v[160:161] offset:11776                   // 000000005240: D89A2E00 0000A004
	ds_write_b64 v4, v[162:163] offset:13952                   // 000000005248: D89A3680 0000A204
	ds_write_b64 v4, v[164:165] offset:16128                   // 000000005250: D89A3F00 0000A404
	ds_write_b64 v4, v[166:167] offset:18304                   // 000000005258: D89A4780 0000A604
	v_mfma_f32_16x16x128_f8f6f4 v[148:151], a[104:111], v[136:143], 0// 000000005260: D3AD0094 0A031168
	buffer_load_dwordx4 a[32:35], v37, s[12:15], 0 offen       // 000000005268: E05C1000 80832025
	buffer_load_dwordx4 a[36:39], v37, s[12:15], 0 offen offset:1024// 000000005270: E05C1400 80832425
	buffer_load_dwordx4 a[40:43], v38, s[12:15], 0 offen       // 000000005278: E05C1000 80832826
	buffer_load_dwordx4 a[44:47], v38, s[12:15], 0 offen offset:1024// 000000005280: E05C1400 80832C26
	s_waitcnt vmcnt(29)                                        // 000000005288: BF8C4F7D
	v_mfma_f32_16x16x128_f8f6f4 v[152:155], a[112:119], v[136:143], 0// 00000000528C: D3AD0098 0A031170
	v_mfma_f32_16x16x128_f8f6f4 v[156:159], a[120:127], v[136:143], 0// 000000005294: D3AD009C 0A031178
	buffer_load_dwordx4 a[48:51], v39, s[12:15], 0 offen       // 00000000529C: E05C1000 80833027
	buffer_load_dwordx4 a[52:55], v39, s[12:15], 0 offen offset:1024// 0000000052A4: E05C1400 80833427
	buffer_load_dwordx4 a[56:59], v40, s[12:15], 0 offen       // 0000000052AC: E05C1000 80833828
	buffer_load_dwordx4 a[60:63], v40, s[12:15], 0 offen offset:1024// 0000000052B4: E05C1400 80833C28
	v_mul_f32_dpp v46, v20, v29 row_newbcast:2 row_mask:0xf bank_mask:0xf// 0000000052BC: 0A5C3AFA FF015214
	v_mov_b32_e32 v47, v46                                     // 0000000052C4: 7E5E032E
	v_pk_fma_f32 v[176:177], v[144:145], v[46:47], v[176:177]  // 0000000052C8: D3B040B0 1EC25D90
	v_pk_fma_f32 v[178:179], v[146:147], v[46:47], v[178:179]  // 0000000052D0: D3B040B2 1ECA5D92
	v_pk_fma_f32 v[180:181], v[148:149], v[46:47], v[180:181]  // 0000000052D8: D3B040B4 1ED25D94
	v_pk_fma_f32 v[182:183], v[150:151], v[46:47], v[182:183]  // 0000000052E0: D3B040B6 1EDA5D96
	v_mul_f32_dpp v46, v20, v29 row_newbcast:3 row_mask:0xf bank_mask:0xf// 0000000052E8: 0A5C3AFA FF015314
	v_mov_b32_e32 v47, v46                                     // 0000000052F0: 7E5E032E
	v_pk_fma_f32 v[184:185], v[152:153], v[46:47], v[184:185]  // 0000000052F4: D3B040B8 1EE25D98
	v_pk_fma_f32 v[186:187], v[154:155], v[46:47], v[186:187]  // 0000000052FC: D3B040BA 1EEA5D9A
	v_pk_fma_f32 v[188:189], v[156:157], v[46:47], v[188:189]  // 000000005304: D3B040BC 1EF25D9C
	v_pk_fma_f32 v[190:191], v[158:159], v[46:47], v[190:191]  // 00000000530C: D3B040BE 1EFA5D9E
	s_add_u32 s60, 0x300, s80                                  // 000000005314: 803C50FF 00000300
	s_cmp_lt_u32 s60, s81                                      // 00000000531C: BF0A513C
	s_cselect_b32 s56, s56, 0                                  // 000000005320: 85388038
	s_cselect_b32 s78, s78, 0                                  // 000000005324: 854E804E
	s_cselect_b32 s79, s79, 0                                  // 000000005328: 854F804F
	s_add_u32 s12, s56, s12                                    // 00000000532C: 800C0C38
	s_addc_u32 s13, 0, s13                                     // 000000005330: 820D0D80
	s_add_u32 s16, s79, s16                                    // 000000005334: 8010104F
	s_addc_u32 s17, 0, s17                                     // 000000005338: 82111180
	v_mov_b32_e32 v46, v23                                     // 00000000533C: 7E5C0317
	v_mov_b32_e32 v47, v23                                     // 000000005340: 7E5E0317
	v_pk_mul_f32 v[176:177], v[46:47], v[176:177]              // 000000005344: D3B140B0 1803612E
	v_pk_mul_f32 v[178:179], v[46:47], v[178:179]              // 00000000534C: D3B140B2 1803652E
	v_pk_mul_f32 v[180:181], v[46:47], v[180:181]              // 000000005354: D3B140B4 1803692E
	v_pk_mul_f32 v[182:183], v[46:47], v[182:183]              // 00000000535C: D3B140B6 18036D2E
	v_pk_mul_f32 v[184:185], v[46:47], v[184:185]              // 000000005364: D3B140B8 1803712E
	v_pk_mul_f32 v[186:187], v[46:47], v[186:187]              // 00000000536C: D3B140BA 1803752E
	v_pk_mul_f32 v[188:189], v[46:47], v[188:189]              // 000000005374: D3B140BC 1803792E
	v_pk_mul_f32 v[190:191], v[46:47], v[190:191]              // 00000000537C: D3B140BE 18037D2E
	v_cvt_pk_bf16_f32 v176, v176, v177                         // 000000005384: D26800B0 000363B0
	v_cvt_pk_bf16_f32 v177, v178, v179                         // 00000000538C: D26800B1 000367B2
	v_cvt_pk_bf16_f32 v178, v180, v181                         // 000000005394: D26800B2 00036BB4
	v_cvt_pk_bf16_f32 v179, v182, v183                         // 00000000539C: D26800B3 00036FB6
	v_cvt_pk_bf16_f32 v180, v184, v185                         // 0000000053A4: D26800B4 000373B8
	v_cvt_pk_bf16_f32 v181, v186, v187                         // 0000000053AC: D26800B5 000377BA
	v_cvt_pk_bf16_f32 v182, v188, v189                         // 0000000053B4: D26800B6 00037BBC
	v_cvt_pk_bf16_f32 v183, v190, v191                         // 0000000053BC: D26800B7 00037FBE
	s_cmp_ge_u32 s80, 0x200                                    // 0000000053C4: BF09FF50 00000200
	s_cselect_b32 s59, 0x200, s59                              // 0000000053CC: 853B3BFF 00000200
	s_waitcnt lgkmcnt(0)                                       // 0000000053D4: BF8CC07F
	s_barrier                                                  // 0000000053D8: BF8A0000
	s_setvskip s20, 0                                          // 0000000053DC: BF108014
	global_atomic_pk_add_bf16 v80, v64, s[8:9]                 // 0000000053E0: DD488000 00084050
	s_setvskip 0, 0                                            // 0000000053E8: BF108080
	s_setvskip s20, 0                                          // 0000000053EC: BF108014
	global_atomic_pk_add_bf16 v80, v65, s[8:9] offset:256      // 0000000053F0: DD488100 00084150
	s_setvskip 0, 0                                            // 0000000053F8: BF108080
	s_setvskip s20, 1                                          // 0000000053FC: BF108114
	global_atomic_pk_add_bf16 v82, v66, s[8:9]                 // 000000005400: DD488000 00084252
	s_setvskip 0, 0                                            // 000000005408: BF108080
	s_setvskip s20, 1                                          // 00000000540C: BF108114
	global_atomic_pk_add_bf16 v82, v67, s[8:9] offset:256      // 000000005410: DD488100 00084352
	s_setvskip 0, 0                                            // 000000005418: BF108080
	s_setvskip s20, 2                                          // 00000000541C: BF108214
	global_atomic_pk_add_bf16 v84, v68, s[8:9]                 // 000000005420: DD488000 00084454
	s_setvskip 0, 0                                            // 000000005428: BF108080
	s_setvskip s20, 2                                          // 00000000542C: BF108214
	global_atomic_pk_add_bf16 v84, v69, s[8:9] offset:256      // 000000005430: DD488100 00084554
	s_setvskip 0, 0                                            // 000000005438: BF108080
	s_setvskip s20, 3                                          // 00000000543C: BF108314
	global_atomic_pk_add_bf16 v86, v70, s[8:9]                 // 000000005440: DD488000 00084656
	s_setvskip 0, 0                                            // 000000005448: BF108080
	s_setvskip s20, 3                                          // 00000000544C: BF108314
	global_atomic_pk_add_bf16 v86, v71, s[8:9] offset:256      // 000000005450: DD488100 00084756
	s_setvskip 0, 0                                            // 000000005458: BF108080
	s_add_u32 s8, s59, s8                                      // 00000000545C: 8008083B
	s_addc_u32 s9, 0, s9                                       // 000000005460: 82090980
	s_addk_i32 s80, 0x100                                      // 000000005464: B7500100
	s_cmp_lt_i32 s80, s81                                      // 000000005468: BF045150
	s_cbranch_scc0 label_0CED                                  // 00000000546C: BF840351
	s_waitcnt vmcnt(29) lgkmcnt(0)                             // 000000005470: BF8C407D
	s_barrier                                                  // 000000005474: BF8A0000
	v_mfma_f32_16x16x128_f8f6f4 v[160:163], a[128:135], v[128:135], 0// 000000005478: D3AD00A0 0A030180
	ds_read_b32 v64, v5 offset:11776                           // 000000005480: D86C2E00 40000005
	ds_read_b32 v65, v5 offset:16128                           // 000000005488: D86C3F00 41000005
	ds_read_b32 v66, v5 offset:11784                           // 000000005490: D86C2E08 42000005
	ds_read_b32 v67, v5 offset:16136                           // 000000005498: D86C3F08 43000005
	ds_read_b32 v68, v5 offset:11808                           // 0000000054A0: D86C2E20 44000005
	ds_read_b32 v69, v5 offset:16160                           // 0000000054A8: D86C3F20 45000005
	ds_read_b32 v70, v5 offset:11816                           // 0000000054B0: D86C2E28 46000005
	ds_read_b32 v71, v5 offset:16168                           // 0000000054B8: D86C3F28 47000005
	v_mfma_f32_16x16x128_f8f6f4 v[164:167], a[136:143], v[128:135], 0// 0000000054C0: D3AD00A4 0A030188
	buffer_load_dword v20, v6, s[16:19], 0 offen               // 0000000054C8: E0501000 80041406
	buffer_load_dwordx4 a[64:67], v37, s[12:15], 0 offen       // 0000000054D0: E05C1000 80834025
	buffer_load_dwordx4 a[68:71], v37, s[12:15], 0 offen offset:1024// 0000000054D8: E05C1400 80834425
	buffer_load_dwordx4 a[72:75], v38, s[12:15], 0 offen       // 0000000054E0: E05C1000 80834826
	buffer_load_dwordx4 a[76:79], v38, s[12:15], 0 offen offset:1024// 0000000054E8: E05C1400 80834C26
	s_waitcnt vmcnt(29)                                        // 0000000054F0: BF8C4F7D
	v_mfma_f32_16x16x128_f8f6f4 v[168:171], a[144:151], v[128:135], 0// 0000000054F4: D3AD00A8 0A030190
	v_mfma_f32_16x16x128_f8f6f4 v[172:175], a[152:159], v[128:135], 0// 0000000054FC: D3AD00AC 0A030198
	buffer_load_dwordx4 a[80:83], v39, s[12:15], 0 offen       // 000000005504: E05C1000 80835027
	buffer_load_dwordx4 a[84:87], v39, s[12:15], 0 offen offset:1024// 00000000550C: E05C1400 80835427
	buffer_load_dwordx4 a[88:91], v40, s[12:15], 0 offen       // 000000005514: E05C1000 80835828
	buffer_load_dwordx4 a[92:95], v40, s[12:15], 0 offen offset:1024// 00000000551C: E05C1400 80835C28
	s_add_u32 s12, s78, s12                                    // 000000005524: 800C0C4E
	s_addc_u32 s13, 0, s13                                     // 000000005528: 820D0D80
	v_mul_f32_dpp v46, v21, v28 row_newbcast:0 row_mask:0xf bank_mask:0xf// 00000000552C: 0A5C38FA FF015015
	v_mov_b32_e32 v47, v46                                     // 000000005534: 7E5E032E
	v_pk_mul_f32 v[160:161], v[46:47], v[160:161]              // 000000005538: D3B140A0 1803412E
	v_pk_mul_f32 v[162:163], v[46:47], v[162:163]              // 000000005540: D3B140A2 1803452E
	v_pk_mul_f32 v[164:165], v[46:47], v[164:165]              // 000000005548: D3B140A4 1803492E
	v_pk_mul_f32 v[166:167], v[46:47], v[166:167]              // 000000005550: D3B140A6 18034D2E
	v_mul_f32_dpp v46, v21, v28 row_newbcast:1 row_mask:0xf bank_mask:0xf// 000000005558: 0A5C38FA FF015115
	v_mov_b32_e32 v47, v46                                     // 000000005560: 7E5E032E
	v_pk_mul_f32 v[168:169], v[46:47], v[168:169]              // 000000005564: D3B140A8 1803512E
	v_pk_mul_f32 v[170:171], v[46:47], v[170:171]              // 00000000556C: D3B140AA 1803552E
	v_pk_mul_f32 v[172:173], v[46:47], v[172:173]              // 000000005574: D3B140AC 1803592E
	v_pk_mul_f32 v[174:175], v[46:47], v[174:175]              // 00000000557C: D3B140AE 18035D2E
	s_waitcnt vmcnt(29)                                        // 000000005584: BF8C4F7D
	v_mfma_f32_16x16x128_f8f6f4 v[144:147], a[160:167], v[136:143], 0// 000000005588: D3AD0090 0A0311A0
	ds_write_b64 v4, v[176:177] offset:29184                   // 000000005590: D89A7200 0000B004
	ds_write_b64 v4, v[178:179] offset:31360                   // 000000005598: D89A7A80 0000B204
	ds_write_b64 v4, v[180:181] offset:33536                   // 0000000055A0: D89A8300 0000B404
	ds_write_b64 v4, v[182:183] offset:35712                   // 0000000055A8: D89A8B80 0000B604
	v_mfma_f32_16x16x128_f8f6f4 v[148:151], a[168:175], v[136:143], 0// 0000000055B0: D3AD0094 0A0311A8
	buffer_load_dwordx4 a[96:99], v37, s[12:15], 0 offen       // 0000000055B8: E05C1000 80836025
	buffer_load_dwordx4 a[100:103], v37, s[12:15], 0 offen offset:1024// 0000000055C0: E05C1400 80836425
	buffer_load_dwordx4 a[104:107], v38, s[12:15], 0 offen     // 0000000055C8: E05C1000 80836826
	buffer_load_dwordx4 a[108:111], v38, s[12:15], 0 offen offset:1024// 0000000055D0: E05C1400 80836C26
	s_waitcnt vmcnt(29)                                        // 0000000055D8: BF8C4F7D
	v_mfma_f32_16x16x128_f8f6f4 v[152:155], a[176:183], v[136:143], 0// 0000000055DC: D3AD0098 0A0311B0
	v_mfma_f32_16x16x128_f8f6f4 v[156:159], a[184:191], v[136:143], 0// 0000000055E4: D3AD009C 0A0311B8
	buffer_load_dwordx4 a[112:115], v39, s[12:15], 0 offen     // 0000000055EC: E05C1000 80837027
	buffer_load_dwordx4 a[116:119], v39, s[12:15], 0 offen offset:1024// 0000000055F4: E05C1400 80837427
	buffer_load_dwordx4 a[120:123], v40, s[12:15], 0 offen     // 0000000055FC: E05C1000 80837828
	buffer_load_dwordx4 a[124:127], v40, s[12:15], 0 offen offset:1024// 000000005604: E05C1400 80837C28
	v_mul_f32_dpp v46, v21, v29 row_newbcast:2 row_mask:0xf bank_mask:0xf// 00000000560C: 0A5C3AFA FF015215
	v_mov_b32_e32 v47, v46                                     // 000000005614: 7E5E032E
	v_pk_fma_f32 v[160:161], v[144:145], v[46:47], v[160:161]  // 000000005618: D3B040A0 1E825D90
	v_pk_fma_f32 v[162:163], v[146:147], v[46:47], v[162:163]  // 000000005620: D3B040A2 1E8A5D92
	v_pk_fma_f32 v[164:165], v[148:149], v[46:47], v[164:165]  // 000000005628: D3B040A4 1E925D94
	v_pk_fma_f32 v[166:167], v[150:151], v[46:47], v[166:167]  // 000000005630: D3B040A6 1E9A5D96
	v_mul_f32_dpp v46, v21, v29 row_newbcast:3 row_mask:0xf bank_mask:0xf// 000000005638: 0A5C3AFA FF015315
	v_mov_b32_e32 v47, v46                                     // 000000005640: 7E5E032E
	v_pk_fma_f32 v[168:169], v[152:153], v[46:47], v[168:169]  // 000000005644: D3B040A8 1EA25D98
	v_pk_fma_f32 v[170:171], v[154:155], v[46:47], v[170:171]  // 00000000564C: D3B040AA 1EAA5D9A
	v_pk_fma_f32 v[172:173], v[156:157], v[46:47], v[172:173]  // 000000005654: D3B040AC 1EB25D9C
	v_pk_fma_f32 v[174:175], v[158:159], v[46:47], v[174:175]  // 00000000565C: D3B040AE 1EBA5D9E
	s_add_u32 s60, 0x300, s80                                  // 000000005664: 803C50FF 00000300
	s_cmp_lt_u32 s60, s81                                      // 00000000566C: BF0A513C
	s_cselect_b32 s56, s56, 0                                  // 000000005670: 85388038
	s_cselect_b32 s78, s78, 0                                  // 000000005674: 854E804E
	s_cselect_b32 s79, s79, 0                                  // 000000005678: 854F804F
	s_add_u32 s12, s56, s12                                    // 00000000567C: 800C0C38
	s_addc_u32 s13, 0, s13                                     // 000000005680: 820D0D80
	s_add_u32 s16, s79, s16                                    // 000000005684: 8010104F
	s_addc_u32 s17, 0, s17                                     // 000000005688: 82111180
	v_mov_b32_e32 v46, v23                                     // 00000000568C: 7E5C0317
	v_mov_b32_e32 v47, v23                                     // 000000005690: 7E5E0317
	v_pk_mul_f32 v[160:161], v[46:47], v[160:161]              // 000000005694: D3B140A0 1803412E
	v_pk_mul_f32 v[162:163], v[46:47], v[162:163]              // 00000000569C: D3B140A2 1803452E
	v_pk_mul_f32 v[164:165], v[46:47], v[164:165]              // 0000000056A4: D3B140A4 1803492E
	v_pk_mul_f32 v[166:167], v[46:47], v[166:167]              // 0000000056AC: D3B140A6 18034D2E
	v_pk_mul_f32 v[168:169], v[46:47], v[168:169]              // 0000000056B4: D3B140A8 1803512E
	v_pk_mul_f32 v[170:171], v[46:47], v[170:171]              // 0000000056BC: D3B140AA 1803552E
	v_pk_mul_f32 v[172:173], v[46:47], v[172:173]              // 0000000056C4: D3B140AC 1803592E
	v_pk_mul_f32 v[174:175], v[46:47], v[174:175]              // 0000000056CC: D3B140AE 18035D2E
	v_cvt_pk_bf16_f32 v160, v160, v161                         // 0000000056D4: D26800A0 000343A0
	v_cvt_pk_bf16_f32 v161, v162, v163                         // 0000000056DC: D26800A1 000347A2
	v_cvt_pk_bf16_f32 v162, v164, v165                         // 0000000056E4: D26800A2 00034BA4
	v_cvt_pk_bf16_f32 v163, v166, v167                         // 0000000056EC: D26800A3 00034FA6
	v_cvt_pk_bf16_f32 v164, v168, v169                         // 0000000056F4: D26800A4 000353A8
	v_cvt_pk_bf16_f32 v165, v170, v171                         // 0000000056FC: D26800A5 000357AA
	v_cvt_pk_bf16_f32 v166, v172, v173                         // 000000005704: D26800A6 00035BAC
	v_cvt_pk_bf16_f32 v167, v174, v175                         // 00000000570C: D26800A7 00035FAE
	s_cmp_ge_u32 s80, 0x200                                    // 000000005714: BF09FF50 00000200
	s_cselect_b32 s59, 0x200, s59                              // 00000000571C: 853B3BFF 00000200
	s_waitcnt lgkmcnt(0)                                       // 000000005724: BF8CC07F
	s_barrier                                                  // 000000005728: BF8A0000
	s_setvskip s20, 0                                          // 00000000572C: BF108014
	global_atomic_pk_add_bf16 v80, v64, s[8:9]                 // 000000005730: DD488000 00084050
	s_setvskip 0, 0                                            // 000000005738: BF108080
	s_setvskip s20, 0                                          // 00000000573C: BF108014
	global_atomic_pk_add_bf16 v80, v65, s[8:9] offset:256      // 000000005740: DD488100 00084150
	s_setvskip 0, 0                                            // 000000005748: BF108080
	s_setvskip s20, 1                                          // 00000000574C: BF108114
	global_atomic_pk_add_bf16 v82, v66, s[8:9]                 // 000000005750: DD488000 00084252
	s_setvskip 0, 0                                            // 000000005758: BF108080
	s_setvskip s20, 1                                          // 00000000575C: BF108114
	global_atomic_pk_add_bf16 v82, v67, s[8:9] offset:256      // 000000005760: DD488100 00084352
	s_setvskip 0, 0                                            // 000000005768: BF108080
	s_setvskip s20, 2                                          // 00000000576C: BF108214
	global_atomic_pk_add_bf16 v84, v68, s[8:9]                 // 000000005770: DD488000 00084454
	s_setvskip 0, 0                                            // 000000005778: BF108080
	s_setvskip s20, 2                                          // 00000000577C: BF108214
	global_atomic_pk_add_bf16 v84, v69, s[8:9] offset:256      // 000000005780: DD488100 00084554
	s_setvskip 0, 0                                            // 000000005788: BF108080
	s_setvskip s20, 3                                          // 00000000578C: BF108314
	global_atomic_pk_add_bf16 v86, v70, s[8:9]                 // 000000005790: DD488000 00084656
	s_setvskip 0, 0                                            // 000000005798: BF108080
	s_setvskip s20, 3                                          // 00000000579C: BF108314
	global_atomic_pk_add_bf16 v86, v71, s[8:9] offset:256      // 0000000057A0: DD488100 00084756
	s_setvskip 0, 0                                            // 0000000057A8: BF108080
	s_add_u32 s8, s59, s8                                      // 0000000057AC: 8008083B
	s_addc_u32 s9, 0, s9                                       // 0000000057B0: 82090980
	s_addk_i32 s80, 0x100                                      // 0000000057B4: B7500100
	s_cmp_lt_i32 s80, s81                                      // 0000000057B8: BF045150
	s_cbranch_scc0 label_0CED                                  // 0000000057BC: BF84027D
	s_waitcnt vmcnt(29) lgkmcnt(0)                             // 0000000057C0: BF8C407D
	s_barrier                                                  // 0000000057C4: BF8A0000
	v_mfma_f32_16x16x128_f8f6f4 v[176:179], a[0:7], v[128:135], 0// 0000000057C8: D3AD00B0 0A030100
	ds_read_b32 v64, v5 offset:29184                           // 0000000057D0: D86C7200 40000005
	ds_read_b32 v65, v5 offset:33536                           // 0000000057D8: D86C8300 41000005
	ds_read_b32 v66, v5 offset:29192                           // 0000000057E0: D86C7208 42000005
	ds_read_b32 v67, v5 offset:33544                           // 0000000057E8: D86C8308 43000005
	ds_read_b32 v68, v5 offset:29216                           // 0000000057F0: D86C7220 44000005
	ds_read_b32 v69, v5 offset:33568                           // 0000000057F8: D86C8320 45000005
	ds_read_b32 v70, v5 offset:29224                           // 000000005800: D86C7228 46000005
	ds_read_b32 v71, v5 offset:33576                           // 000000005808: D86C8328 47000005
	v_mfma_f32_16x16x128_f8f6f4 v[180:183], a[8:15], v[128:135], 0// 000000005810: D3AD00B4 0A030108
	buffer_load_dword v21, v6, s[16:19], 0 offen               // 000000005818: E0501000 80041506
	buffer_load_dwordx4 a[128:131], v37, s[12:15], 0 offen     // 000000005820: E05C1000 80838025
	buffer_load_dwordx4 a[132:135], v37, s[12:15], 0 offen offset:1024// 000000005828: E05C1400 80838425
	buffer_load_dwordx4 a[136:139], v38, s[12:15], 0 offen     // 000000005830: E05C1000 80838826
	buffer_load_dwordx4 a[140:143], v38, s[12:15], 0 offen offset:1024// 000000005838: E05C1400 80838C26
	s_waitcnt vmcnt(29)                                        // 000000005840: BF8C4F7D
	v_mfma_f32_16x16x128_f8f6f4 v[184:187], a[16:23], v[128:135], 0// 000000005844: D3AD00B8 0A030110
	v_mfma_f32_16x16x128_f8f6f4 v[188:191], a[24:31], v[128:135], 0// 00000000584C: D3AD00BC 0A030118
	buffer_load_dwordx4 a[144:147], v39, s[12:15], 0 offen     // 000000005854: E05C1000 80839027
	buffer_load_dwordx4 a[148:151], v39, s[12:15], 0 offen offset:1024// 00000000585C: E05C1400 80839427
	buffer_load_dwordx4 a[152:155], v40, s[12:15], 0 offen     // 000000005864: E05C1000 80839828
	buffer_load_dwordx4 a[156:159], v40, s[12:15], 0 offen offset:1024// 00000000586C: E05C1400 80839C28
	s_add_u32 s12, s78, s12                                    // 000000005874: 800C0C4E
	s_addc_u32 s13, 0, s13                                     // 000000005878: 820D0D80
	v_mul_f32_dpp v46, v19, v28 row_newbcast:0 row_mask:0xf bank_mask:0xf// 00000000587C: 0A5C38FA FF015013
	v_mov_b32_e32 v47, v46                                     // 000000005884: 7E5E032E
	v_pk_mul_f32 v[176:177], v[46:47], v[176:177]              // 000000005888: D3B140B0 1803612E
	v_pk_mul_f32 v[178:179], v[46:47], v[178:179]              // 000000005890: D3B140B2 1803652E
	v_pk_mul_f32 v[180:181], v[46:47], v[180:181]              // 000000005898: D3B140B4 1803692E
	v_pk_mul_f32 v[182:183], v[46:47], v[182:183]              // 0000000058A0: D3B140B6 18036D2E
	v_mul_f32_dpp v46, v19, v28 row_newbcast:1 row_mask:0xf bank_mask:0xf// 0000000058A8: 0A5C38FA FF015113
	v_mov_b32_e32 v47, v46                                     // 0000000058B0: 7E5E032E
	v_pk_mul_f32 v[184:185], v[46:47], v[184:185]              // 0000000058B4: D3B140B8 1803712E
	v_pk_mul_f32 v[186:187], v[46:47], v[186:187]              // 0000000058BC: D3B140BA 1803752E
	v_pk_mul_f32 v[188:189], v[46:47], v[188:189]              // 0000000058C4: D3B140BC 1803792E
	v_pk_mul_f32 v[190:191], v[46:47], v[190:191]              // 0000000058CC: D3B140BE 18037D2E
	s_waitcnt vmcnt(29)                                        // 0000000058D4: BF8C4F7D
	v_mfma_f32_16x16x128_f8f6f4 v[144:147], a[32:39], v[136:143], 0// 0000000058D8: D3AD0090 0A031120
	ds_write_b64 v4, v[160:161] offset:11776                   // 0000000058E0: D89A2E00 0000A004
	ds_write_b64 v4, v[162:163] offset:13952                   // 0000000058E8: D89A3680 0000A204
	ds_write_b64 v4, v[164:165] offset:16128                   // 0000000058F0: D89A3F00 0000A404
	ds_write_b64 v4, v[166:167] offset:18304                   // 0000000058F8: D89A4780 0000A604
	v_mfma_f32_16x16x128_f8f6f4 v[148:151], a[40:47], v[136:143], 0// 000000005900: D3AD0094 0A031128
	buffer_load_dwordx4 a[160:163], v37, s[12:15], 0 offen     // 000000005908: E05C1000 8083A025
	buffer_load_dwordx4 a[164:167], v37, s[12:15], 0 offen offset:1024// 000000005910: E05C1400 8083A425
	buffer_load_dwordx4 a[168:171], v38, s[12:15], 0 offen     // 000000005918: E05C1000 8083A826
	buffer_load_dwordx4 a[172:175], v38, s[12:15], 0 offen offset:1024// 000000005920: E05C1400 8083AC26
	s_waitcnt vmcnt(29)                                        // 000000005928: BF8C4F7D
	v_mfma_f32_16x16x128_f8f6f4 v[152:155], a[48:55], v[136:143], 0// 00000000592C: D3AD0098 0A031130
	v_mfma_f32_16x16x128_f8f6f4 v[156:159], a[56:63], v[136:143], 0// 000000005934: D3AD009C 0A031138
	buffer_load_dwordx4 a[176:179], v39, s[12:15], 0 offen     // 00000000593C: E05C1000 8083B027
	buffer_load_dwordx4 a[180:183], v39, s[12:15], 0 offen offset:1024// 000000005944: E05C1400 8083B427
	buffer_load_dwordx4 a[184:187], v40, s[12:15], 0 offen     // 00000000594C: E05C1000 8083B828
	buffer_load_dwordx4 a[188:191], v40, s[12:15], 0 offen offset:1024// 000000005954: E05C1400 8083BC28
	v_mul_f32_dpp v46, v19, v29 row_newbcast:2 row_mask:0xf bank_mask:0xf// 00000000595C: 0A5C3AFA FF015213
	v_mov_b32_e32 v47, v46                                     // 000000005964: 7E5E032E
	v_pk_fma_f32 v[176:177], v[144:145], v[46:47], v[176:177]  // 000000005968: D3B040B0 1EC25D90
	v_pk_fma_f32 v[178:179], v[146:147], v[46:47], v[178:179]  // 000000005970: D3B040B2 1ECA5D92
	v_pk_fma_f32 v[180:181], v[148:149], v[46:47], v[180:181]  // 000000005978: D3B040B4 1ED25D94
	v_pk_fma_f32 v[182:183], v[150:151], v[46:47], v[182:183]  // 000000005980: D3B040B6 1EDA5D96
	v_mul_f32_dpp v46, v19, v29 row_newbcast:3 row_mask:0xf bank_mask:0xf// 000000005988: 0A5C3AFA FF015313
	v_mov_b32_e32 v47, v46                                     // 000000005990: 7E5E032E
	v_pk_fma_f32 v[184:185], v[152:153], v[46:47], v[184:185]  // 000000005994: D3B040B8 1EE25D98
	v_pk_fma_f32 v[186:187], v[154:155], v[46:47], v[186:187]  // 00000000599C: D3B040BA 1EEA5D9A
	v_pk_fma_f32 v[188:189], v[156:157], v[46:47], v[188:189]  // 0000000059A4: D3B040BC 1EF25D9C
	v_pk_fma_f32 v[190:191], v[158:159], v[46:47], v[190:191]  // 0000000059AC: D3B040BE 1EFA5D9E
	s_add_u32 s60, 0x300, s80                                  // 0000000059B4: 803C50FF 00000300
	s_cmp_lt_u32 s60, s81                                      // 0000000059BC: BF0A513C
	s_cselect_b32 s56, s56, 0                                  // 0000000059C0: 85388038
	s_cselect_b32 s78, s78, 0                                  // 0000000059C4: 854E804E
	s_cselect_b32 s79, s79, 0                                  // 0000000059C8: 854F804F
	s_add_u32 s12, s56, s12                                    // 0000000059CC: 800C0C38
	s_addc_u32 s13, 0, s13                                     // 0000000059D0: 820D0D80
	s_add_u32 s16, s79, s16                                    // 0000000059D4: 8010104F
	s_addc_u32 s17, 0, s17                                     // 0000000059D8: 82111180
	v_mov_b32_e32 v46, v23                                     // 0000000059DC: 7E5C0317
	v_mov_b32_e32 v47, v23                                     // 0000000059E0: 7E5E0317
	v_pk_mul_f32 v[176:177], v[46:47], v[176:177]              // 0000000059E4: D3B140B0 1803612E
	v_pk_mul_f32 v[178:179], v[46:47], v[178:179]              // 0000000059EC: D3B140B2 1803652E
	v_pk_mul_f32 v[180:181], v[46:47], v[180:181]              // 0000000059F4: D3B140B4 1803692E
	v_pk_mul_f32 v[182:183], v[46:47], v[182:183]              // 0000000059FC: D3B140B6 18036D2E
	v_pk_mul_f32 v[184:185], v[46:47], v[184:185]              // 000000005A04: D3B140B8 1803712E
	v_pk_mul_f32 v[186:187], v[46:47], v[186:187]              // 000000005A0C: D3B140BA 1803752E
	v_pk_mul_f32 v[188:189], v[46:47], v[188:189]              // 000000005A14: D3B140BC 1803792E
	v_pk_mul_f32 v[190:191], v[46:47], v[190:191]              // 000000005A1C: D3B140BE 18037D2E
	v_cvt_pk_bf16_f32 v176, v176, v177                         // 000000005A24: D26800B0 000363B0
	v_cvt_pk_bf16_f32 v177, v178, v179                         // 000000005A2C: D26800B1 000367B2
	v_cvt_pk_bf16_f32 v178, v180, v181                         // 000000005A34: D26800B2 00036BB4
	v_cvt_pk_bf16_f32 v179, v182, v183                         // 000000005A3C: D26800B3 00036FB6
	v_cvt_pk_bf16_f32 v180, v184, v185                         // 000000005A44: D26800B4 000373B8
	v_cvt_pk_bf16_f32 v181, v186, v187                         // 000000005A4C: D26800B5 000377BA
	v_cvt_pk_bf16_f32 v182, v188, v189                         // 000000005A54: D26800B6 00037BBC
	v_cvt_pk_bf16_f32 v183, v190, v191                         // 000000005A5C: D26800B7 00037FBE
	s_cmp_ge_u32 s80, 0x200                                    // 000000005A64: BF09FF50 00000200
	s_cselect_b32 s59, 0x200, s59                              // 000000005A6C: 853B3BFF 00000200
	s_waitcnt lgkmcnt(0)                                       // 000000005A74: BF8CC07F
	s_barrier                                                  // 000000005A78: BF8A0000
	s_setvskip s20, 0                                          // 000000005A7C: BF108014
	global_atomic_pk_add_bf16 v80, v64, s[8:9]                 // 000000005A80: DD488000 00084050
	s_setvskip 0, 0                                            // 000000005A88: BF108080
	s_setvskip s20, 0                                          // 000000005A8C: BF108014
	global_atomic_pk_add_bf16 v80, v65, s[8:9] offset:256      // 000000005A90: DD488100 00084150
	s_setvskip 0, 0                                            // 000000005A98: BF108080
	s_setvskip s20, 1                                          // 000000005A9C: BF108114
	global_atomic_pk_add_bf16 v82, v66, s[8:9]                 // 000000005AA0: DD488000 00084252
	s_setvskip 0, 0                                            // 000000005AA8: BF108080
	s_setvskip s20, 1                                          // 000000005AAC: BF108114
	global_atomic_pk_add_bf16 v82, v67, s[8:9] offset:256      // 000000005AB0: DD488100 00084352
	s_setvskip 0, 0                                            // 000000005AB8: BF108080
	s_setvskip s20, 2                                          // 000000005ABC: BF108214
	global_atomic_pk_add_bf16 v84, v68, s[8:9]                 // 000000005AC0: DD488000 00084454
	s_setvskip 0, 0                                            // 000000005AC8: BF108080
	s_setvskip s20, 2                                          // 000000005ACC: BF108214
	global_atomic_pk_add_bf16 v84, v69, s[8:9] offset:256      // 000000005AD0: DD488100 00084554
	s_setvskip 0, 0                                            // 000000005AD8: BF108080
	s_setvskip s20, 3                                          // 000000005ADC: BF108314
	global_atomic_pk_add_bf16 v86, v70, s[8:9]                 // 000000005AE0: DD488000 00084656
	s_setvskip 0, 0                                            // 000000005AE8: BF108080
	s_setvskip s20, 3                                          // 000000005AEC: BF108314
	global_atomic_pk_add_bf16 v86, v71, s[8:9] offset:256      // 000000005AF0: DD488100 00084756
	s_setvskip 0, 0                                            // 000000005AF8: BF108080
	s_add_u32 s8, s59, s8                                      // 000000005AFC: 8008083B
	s_addc_u32 s9, 0, s9                                       // 000000005B00: 82090980
	s_addk_i32 s80, 0x100                                      // 000000005B04: B7500100
	s_cmp_lt_i32 s80, s81                                      // 000000005B08: BF045150
	s_cbranch_scc0 label_0CED                                  // 000000005B0C: BF8401A9
	s_waitcnt vmcnt(29) lgkmcnt(0)                             // 000000005B10: BF8C407D
	s_barrier                                                  // 000000005B14: BF8A0000
	v_mfma_f32_16x16x128_f8f6f4 v[160:163], a[64:71], v[128:135], 0// 000000005B18: D3AD00A0 0A030140
	ds_read_b32 v64, v5 offset:11776                           // 000000005B20: D86C2E00 40000005
	ds_read_b32 v65, v5 offset:16128                           // 000000005B28: D86C3F00 41000005
	ds_read_b32 v66, v5 offset:11784                           // 000000005B30: D86C2E08 42000005
	ds_read_b32 v67, v5 offset:16136                           // 000000005B38: D86C3F08 43000005
	ds_read_b32 v68, v5 offset:11808                           // 000000005B40: D86C2E20 44000005
	ds_read_b32 v69, v5 offset:16160                           // 000000005B48: D86C3F20 45000005
	ds_read_b32 v70, v5 offset:11816                           // 000000005B50: D86C2E28 46000005
	ds_read_b32 v71, v5 offset:16168                           // 000000005B58: D86C3F28 47000005
	v_mfma_f32_16x16x128_f8f6f4 v[164:167], a[72:79], v[128:135], 0// 000000005B60: D3AD00A4 0A030148
	buffer_load_dword v19, v6, s[16:19], 0 offen               // 000000005B68: E0501000 80041306
	buffer_load_dwordx4 a[0:3], v37, s[12:15], 0 offen         // 000000005B70: E05C1000 80830025
	buffer_load_dwordx4 a[4:7], v37, s[12:15], 0 offen offset:1024// 000000005B78: E05C1400 80830425
	buffer_load_dwordx4 a[8:11], v38, s[12:15], 0 offen        // 000000005B80: E05C1000 80830826
	buffer_load_dwordx4 a[12:15], v38, s[12:15], 0 offen offset:1024// 000000005B88: E05C1400 80830C26
	s_waitcnt vmcnt(29)                                        // 000000005B90: BF8C4F7D
	v_mfma_f32_16x16x128_f8f6f4 v[168:171], a[80:87], v[128:135], 0// 000000005B94: D3AD00A8 0A030150
	v_mfma_f32_16x16x128_f8f6f4 v[172:175], a[88:95], v[128:135], 0// 000000005B9C: D3AD00AC 0A030158
	buffer_load_dwordx4 a[16:19], v39, s[12:15], 0 offen       // 000000005BA4: E05C1000 80831027
	buffer_load_dwordx4 a[20:23], v39, s[12:15], 0 offen offset:1024// 000000005BAC: E05C1400 80831427
	buffer_load_dwordx4 a[24:27], v40, s[12:15], 0 offen       // 000000005BB4: E05C1000 80831828
	buffer_load_dwordx4 a[28:31], v40, s[12:15], 0 offen offset:1024// 000000005BBC: E05C1400 80831C28
	s_add_u32 s12, s78, s12                                    // 000000005BC4: 800C0C4E
	s_addc_u32 s13, 0, s13                                     // 000000005BC8: 820D0D80
	v_mul_f32_dpp v46, v20, v28 row_newbcast:0 row_mask:0xf bank_mask:0xf// 000000005BCC: 0A5C38FA FF015014
	v_mov_b32_e32 v47, v46                                     // 000000005BD4: 7E5E032E
	v_pk_mul_f32 v[160:161], v[46:47], v[160:161]              // 000000005BD8: D3B140A0 1803412E
	v_pk_mul_f32 v[162:163], v[46:47], v[162:163]              // 000000005BE0: D3B140A2 1803452E
	v_pk_mul_f32 v[164:165], v[46:47], v[164:165]              // 000000005BE8: D3B140A4 1803492E
	v_pk_mul_f32 v[166:167], v[46:47], v[166:167]              // 000000005BF0: D3B140A6 18034D2E
	v_mul_f32_dpp v46, v20, v28 row_newbcast:1 row_mask:0xf bank_mask:0xf// 000000005BF8: 0A5C38FA FF015114
	v_mov_b32_e32 v47, v46                                     // 000000005C00: 7E5E032E
	v_pk_mul_f32 v[168:169], v[46:47], v[168:169]              // 000000005C04: D3B140A8 1803512E
	v_pk_mul_f32 v[170:171], v[46:47], v[170:171]              // 000000005C0C: D3B140AA 1803552E
	v_pk_mul_f32 v[172:173], v[46:47], v[172:173]              // 000000005C14: D3B140AC 1803592E
	v_pk_mul_f32 v[174:175], v[46:47], v[174:175]              // 000000005C1C: D3B140AE 18035D2E
	s_waitcnt vmcnt(29)                                        // 000000005C24: BF8C4F7D
	v_mfma_f32_16x16x128_f8f6f4 v[144:147], a[96:103], v[136:143], 0// 000000005C28: D3AD0090 0A031160
	ds_write_b64 v4, v[176:177] offset:29184                   // 000000005C30: D89A7200 0000B004
	ds_write_b64 v4, v[178:179] offset:31360                   // 000000005C38: D89A7A80 0000B204
	ds_write_b64 v4, v[180:181] offset:33536                   // 000000005C40: D89A8300 0000B404
	ds_write_b64 v4, v[182:183] offset:35712                   // 000000005C48: D89A8B80 0000B604
	v_mfma_f32_16x16x128_f8f6f4 v[148:151], a[104:111], v[136:143], 0// 000000005C50: D3AD0094 0A031168
	buffer_load_dwordx4 a[32:35], v37, s[12:15], 0 offen       // 000000005C58: E05C1000 80832025
	buffer_load_dwordx4 a[36:39], v37, s[12:15], 0 offen offset:1024// 000000005C60: E05C1400 80832425
	buffer_load_dwordx4 a[40:43], v38, s[12:15], 0 offen       // 000000005C68: E05C1000 80832826
	buffer_load_dwordx4 a[44:47], v38, s[12:15], 0 offen offset:1024// 000000005C70: E05C1400 80832C26
	s_waitcnt vmcnt(29)                                        // 000000005C78: BF8C4F7D
	v_mfma_f32_16x16x128_f8f6f4 v[152:155], a[112:119], v[136:143], 0// 000000005C7C: D3AD0098 0A031170
	v_mfma_f32_16x16x128_f8f6f4 v[156:159], a[120:127], v[136:143], 0// 000000005C84: D3AD009C 0A031178
	buffer_load_dwordx4 a[48:51], v39, s[12:15], 0 offen       // 000000005C8C: E05C1000 80833027
	buffer_load_dwordx4 a[52:55], v39, s[12:15], 0 offen offset:1024// 000000005C94: E05C1400 80833427
	buffer_load_dwordx4 a[56:59], v40, s[12:15], 0 offen       // 000000005C9C: E05C1000 80833828
	buffer_load_dwordx4 a[60:63], v40, s[12:15], 0 offen offset:1024// 000000005CA4: E05C1400 80833C28
	v_mul_f32_dpp v46, v20, v29 row_newbcast:2 row_mask:0xf bank_mask:0xf// 000000005CAC: 0A5C3AFA FF015214
	v_mov_b32_e32 v47, v46                                     // 000000005CB4: 7E5E032E
	v_pk_fma_f32 v[160:161], v[144:145], v[46:47], v[160:161]  // 000000005CB8: D3B040A0 1E825D90
	v_pk_fma_f32 v[162:163], v[146:147], v[46:47], v[162:163]  // 000000005CC0: D3B040A2 1E8A5D92
	v_pk_fma_f32 v[164:165], v[148:149], v[46:47], v[164:165]  // 000000005CC8: D3B040A4 1E925D94
	v_pk_fma_f32 v[166:167], v[150:151], v[46:47], v[166:167]  // 000000005CD0: D3B040A6 1E9A5D96
	v_mul_f32_dpp v46, v20, v29 row_newbcast:3 row_mask:0xf bank_mask:0xf// 000000005CD8: 0A5C3AFA FF015314
	v_mov_b32_e32 v47, v46                                     // 000000005CE0: 7E5E032E
	v_pk_fma_f32 v[168:169], v[152:153], v[46:47], v[168:169]  // 000000005CE4: D3B040A8 1EA25D98
	v_pk_fma_f32 v[170:171], v[154:155], v[46:47], v[170:171]  // 000000005CEC: D3B040AA 1EAA5D9A
	v_pk_fma_f32 v[172:173], v[156:157], v[46:47], v[172:173]  // 000000005CF4: D3B040AC 1EB25D9C
	v_pk_fma_f32 v[174:175], v[158:159], v[46:47], v[174:175]  // 000000005CFC: D3B040AE 1EBA5D9E
	s_add_u32 s60, 0x300, s80                                  // 000000005D04: 803C50FF 00000300
	s_cmp_lt_u32 s60, s81                                      // 000000005D0C: BF0A513C
	s_cselect_b32 s56, s56, 0                                  // 000000005D10: 85388038
	s_cselect_b32 s78, s78, 0                                  // 000000005D14: 854E804E
	s_cselect_b32 s79, s79, 0                                  // 000000005D18: 854F804F
	s_add_u32 s12, s56, s12                                    // 000000005D1C: 800C0C38
	s_addc_u32 s13, 0, s13                                     // 000000005D20: 820D0D80
	s_add_u32 s16, s79, s16                                    // 000000005D24: 8010104F
	s_addc_u32 s17, 0, s17                                     // 000000005D28: 82111180
	v_mov_b32_e32 v46, v23                                     // 000000005D2C: 7E5C0317
	v_mov_b32_e32 v47, v23                                     // 000000005D30: 7E5E0317
	v_pk_mul_f32 v[160:161], v[46:47], v[160:161]              // 000000005D34: D3B140A0 1803412E
	v_pk_mul_f32 v[162:163], v[46:47], v[162:163]              // 000000005D3C: D3B140A2 1803452E
	v_pk_mul_f32 v[164:165], v[46:47], v[164:165]              // 000000005D44: D3B140A4 1803492E
	v_pk_mul_f32 v[166:167], v[46:47], v[166:167]              // 000000005D4C: D3B140A6 18034D2E
	v_pk_mul_f32 v[168:169], v[46:47], v[168:169]              // 000000005D54: D3B140A8 1803512E
	v_pk_mul_f32 v[170:171], v[46:47], v[170:171]              // 000000005D5C: D3B140AA 1803552E
	v_pk_mul_f32 v[172:173], v[46:47], v[172:173]              // 000000005D64: D3B140AC 1803592E
	v_pk_mul_f32 v[174:175], v[46:47], v[174:175]              // 000000005D6C: D3B140AE 18035D2E
	v_cvt_pk_bf16_f32 v160, v160, v161                         // 000000005D74: D26800A0 000343A0
	v_cvt_pk_bf16_f32 v161, v162, v163                         // 000000005D7C: D26800A1 000347A2
	v_cvt_pk_bf16_f32 v162, v164, v165                         // 000000005D84: D26800A2 00034BA4
	v_cvt_pk_bf16_f32 v163, v166, v167                         // 000000005D8C: D26800A3 00034FA6
	v_cvt_pk_bf16_f32 v164, v168, v169                         // 000000005D94: D26800A4 000353A8
	v_cvt_pk_bf16_f32 v165, v170, v171                         // 000000005D9C: D26800A5 000357AA
	v_cvt_pk_bf16_f32 v166, v172, v173                         // 000000005DA4: D26800A6 00035BAC
	v_cvt_pk_bf16_f32 v167, v174, v175                         // 000000005DAC: D26800A7 00035FAE
	s_cmp_ge_u32 s80, 0x200                                    // 000000005DB4: BF09FF50 00000200
	s_cselect_b32 s59, 0x200, s59                              // 000000005DBC: 853B3BFF 00000200
	s_waitcnt lgkmcnt(0)                                       // 000000005DC4: BF8CC07F
	s_barrier                                                  // 000000005DC8: BF8A0000
	s_setvskip s20, 0                                          // 000000005DCC: BF108014
	global_atomic_pk_add_bf16 v80, v64, s[8:9]                 // 000000005DD0: DD488000 00084050
	s_setvskip 0, 0                                            // 000000005DD8: BF108080
	s_setvskip s20, 0                                          // 000000005DDC: BF108014
	global_atomic_pk_add_bf16 v80, v65, s[8:9] offset:256      // 000000005DE0: DD488100 00084150
	s_setvskip 0, 0                                            // 000000005DE8: BF108080
	s_setvskip s20, 1                                          // 000000005DEC: BF108114
	global_atomic_pk_add_bf16 v82, v66, s[8:9]                 // 000000005DF0: DD488000 00084252
	s_setvskip 0, 0                                            // 000000005DF8: BF108080
	s_setvskip s20, 1                                          // 000000005DFC: BF108114
	global_atomic_pk_add_bf16 v82, v67, s[8:9] offset:256      // 000000005E00: DD488100 00084352
	s_setvskip 0, 0                                            // 000000005E08: BF108080
	s_setvskip s20, 2                                          // 000000005E0C: BF108214
	global_atomic_pk_add_bf16 v84, v68, s[8:9]                 // 000000005E10: DD488000 00084454
	s_setvskip 0, 0                                            // 000000005E18: BF108080
	s_setvskip s20, 2                                          // 000000005E1C: BF108214
	global_atomic_pk_add_bf16 v84, v69, s[8:9] offset:256      // 000000005E20: DD488100 00084554
	s_setvskip 0, 0                                            // 000000005E28: BF108080
	s_setvskip s20, 3                                          // 000000005E2C: BF108314
	global_atomic_pk_add_bf16 v86, v70, s[8:9]                 // 000000005E30: DD488000 00084656
	s_setvskip 0, 0                                            // 000000005E38: BF108080
	s_setvskip s20, 3                                          // 000000005E3C: BF108314
	global_atomic_pk_add_bf16 v86, v71, s[8:9] offset:256      // 000000005E40: DD488100 00084756
	s_setvskip 0, 0                                            // 000000005E48: BF108080
	s_add_u32 s8, s59, s8                                      // 000000005E4C: 8008083B
	s_addc_u32 s9, 0, s9                                       // 000000005E50: 82090980
	s_addk_i32 s80, 0x100                                      // 000000005E54: B7500100
	s_cmp_lt_i32 s80, s81                                      // 000000005E58: BF045150
	s_cbranch_scc0 label_0CED                                  // 000000005E5C: BF8400D5
	s_waitcnt vmcnt(29) lgkmcnt(0)                             // 000000005E60: BF8C407D
	s_barrier                                                  // 000000005E64: BF8A0000
	v_mfma_f32_16x16x128_f8f6f4 v[176:179], a[128:135], v[128:135], 0// 000000005E68: D3AD00B0 0A030180
	ds_read_b32 v64, v5 offset:29184                           // 000000005E70: D86C7200 40000005
	ds_read_b32 v65, v5 offset:33536                           // 000000005E78: D86C8300 41000005
	ds_read_b32 v66, v5 offset:29192                           // 000000005E80: D86C7208 42000005
	ds_read_b32 v67, v5 offset:33544                           // 000000005E88: D86C8308 43000005
	ds_read_b32 v68, v5 offset:29216                           // 000000005E90: D86C7220 44000005
	ds_read_b32 v69, v5 offset:33568                           // 000000005E98: D86C8320 45000005
	ds_read_b32 v70, v5 offset:29224                           // 000000005EA0: D86C7228 46000005
	ds_read_b32 v71, v5 offset:33576                           // 000000005EA8: D86C8328 47000005
	v_mfma_f32_16x16x128_f8f6f4 v[180:183], a[136:143], v[128:135], 0// 000000005EB0: D3AD00B4 0A030188
	buffer_load_dword v20, v6, s[16:19], 0 offen               // 000000005EB8: E0501000 80041406
	buffer_load_dwordx4 a[64:67], v37, s[12:15], 0 offen       // 000000005EC0: E05C1000 80834025
	buffer_load_dwordx4 a[68:71], v37, s[12:15], 0 offen offset:1024// 000000005EC8: E05C1400 80834425
	buffer_load_dwordx4 a[72:75], v38, s[12:15], 0 offen       // 000000005ED0: E05C1000 80834826
	buffer_load_dwordx4 a[76:79], v38, s[12:15], 0 offen offset:1024// 000000005ED8: E05C1400 80834C26
	s_waitcnt vmcnt(29)                                        // 000000005EE0: BF8C4F7D
	v_mfma_f32_16x16x128_f8f6f4 v[184:187], a[144:151], v[128:135], 0// 000000005EE4: D3AD00B8 0A030190
	v_mfma_f32_16x16x128_f8f6f4 v[188:191], a[152:159], v[128:135], 0// 000000005EEC: D3AD00BC 0A030198
	buffer_load_dwordx4 a[80:83], v39, s[12:15], 0 offen       // 000000005EF4: E05C1000 80835027
	buffer_load_dwordx4 a[84:87], v39, s[12:15], 0 offen offset:1024// 000000005EFC: E05C1400 80835427
	buffer_load_dwordx4 a[88:91], v40, s[12:15], 0 offen       // 000000005F04: E05C1000 80835828
	buffer_load_dwordx4 a[92:95], v40, s[12:15], 0 offen offset:1024// 000000005F0C: E05C1400 80835C28
	s_add_u32 s12, s78, s12                                    // 000000005F14: 800C0C4E
	s_addc_u32 s13, 0, s13                                     // 000000005F18: 820D0D80
	v_mul_f32_dpp v46, v21, v28 row_newbcast:0 row_mask:0xf bank_mask:0xf// 000000005F1C: 0A5C38FA FF015015
	v_mov_b32_e32 v47, v46                                     // 000000005F24: 7E5E032E
	v_pk_mul_f32 v[176:177], v[46:47], v[176:177]              // 000000005F28: D3B140B0 1803612E
	v_pk_mul_f32 v[178:179], v[46:47], v[178:179]              // 000000005F30: D3B140B2 1803652E
	v_pk_mul_f32 v[180:181], v[46:47], v[180:181]              // 000000005F38: D3B140B4 1803692E
	v_pk_mul_f32 v[182:183], v[46:47], v[182:183]              // 000000005F40: D3B140B6 18036D2E
	v_mul_f32_dpp v46, v21, v28 row_newbcast:1 row_mask:0xf bank_mask:0xf// 000000005F48: 0A5C38FA FF015115
	v_mov_b32_e32 v47, v46                                     // 000000005F50: 7E5E032E
	v_pk_mul_f32 v[184:185], v[46:47], v[184:185]              // 000000005F54: D3B140B8 1803712E
	v_pk_mul_f32 v[186:187], v[46:47], v[186:187]              // 000000005F5C: D3B140BA 1803752E
	v_pk_mul_f32 v[188:189], v[46:47], v[188:189]              // 000000005F64: D3B140BC 1803792E
	v_pk_mul_f32 v[190:191], v[46:47], v[190:191]              // 000000005F6C: D3B140BE 18037D2E
	s_waitcnt vmcnt(29)                                        // 000000005F74: BF8C4F7D
	v_mfma_f32_16x16x128_f8f6f4 v[144:147], a[160:167], v[136:143], 0// 000000005F78: D3AD0090 0A0311A0
	ds_write_b64 v4, v[160:161] offset:11776                   // 000000005F80: D89A2E00 0000A004
	ds_write_b64 v4, v[162:163] offset:13952                   // 000000005F88: D89A3680 0000A204
	ds_write_b64 v4, v[164:165] offset:16128                   // 000000005F90: D89A3F00 0000A404
	ds_write_b64 v4, v[166:167] offset:18304                   // 000000005F98: D89A4780 0000A604
	v_mfma_f32_16x16x128_f8f6f4 v[148:151], a[168:175], v[136:143], 0// 000000005FA0: D3AD0094 0A0311A8
	buffer_load_dwordx4 a[96:99], v37, s[12:15], 0 offen       // 000000005FA8: E05C1000 80836025
	buffer_load_dwordx4 a[100:103], v37, s[12:15], 0 offen offset:1024// 000000005FB0: E05C1400 80836425
	buffer_load_dwordx4 a[104:107], v38, s[12:15], 0 offen     // 000000005FB8: E05C1000 80836826
	buffer_load_dwordx4 a[108:111], v38, s[12:15], 0 offen offset:1024// 000000005FC0: E05C1400 80836C26
	s_waitcnt vmcnt(29)                                        // 000000005FC8: BF8C4F7D
	v_mfma_f32_16x16x128_f8f6f4 v[152:155], a[176:183], v[136:143], 0// 000000005FCC: D3AD0098 0A0311B0
	v_mfma_f32_16x16x128_f8f6f4 v[156:159], a[184:191], v[136:143], 0// 000000005FD4: D3AD009C 0A0311B8
	buffer_load_dwordx4 a[112:115], v39, s[12:15], 0 offen     // 000000005FDC: E05C1000 80837027
	buffer_load_dwordx4 a[116:119], v39, s[12:15], 0 offen offset:1024// 000000005FE4: E05C1400 80837427
	buffer_load_dwordx4 a[120:123], v40, s[12:15], 0 offen     // 000000005FEC: E05C1000 80837828
	buffer_load_dwordx4 a[124:127], v40, s[12:15], 0 offen offset:1024// 000000005FF4: E05C1400 80837C28
	v_mul_f32_dpp v46, v21, v29 row_newbcast:2 row_mask:0xf bank_mask:0xf// 000000005FFC: 0A5C3AFA FF015215
	v_mov_b32_e32 v47, v46                                     // 000000006004: 7E5E032E
	v_pk_fma_f32 v[176:177], v[144:145], v[46:47], v[176:177]  // 000000006008: D3B040B0 1EC25D90
	v_pk_fma_f32 v[178:179], v[146:147], v[46:47], v[178:179]  // 000000006010: D3B040B2 1ECA5D92
	v_pk_fma_f32 v[180:181], v[148:149], v[46:47], v[180:181]  // 000000006018: D3B040B4 1ED25D94
	v_pk_fma_f32 v[182:183], v[150:151], v[46:47], v[182:183]  // 000000006020: D3B040B6 1EDA5D96
	v_mul_f32_dpp v46, v21, v29 row_newbcast:3 row_mask:0xf bank_mask:0xf// 000000006028: 0A5C3AFA FF015315
	v_mov_b32_e32 v47, v46                                     // 000000006030: 7E5E032E
	v_pk_fma_f32 v[184:185], v[152:153], v[46:47], v[184:185]  // 000000006034: D3B040B8 1EE25D98
	v_pk_fma_f32 v[186:187], v[154:155], v[46:47], v[186:187]  // 00000000603C: D3B040BA 1EEA5D9A
	v_pk_fma_f32 v[188:189], v[156:157], v[46:47], v[188:189]  // 000000006044: D3B040BC 1EF25D9C
	v_pk_fma_f32 v[190:191], v[158:159], v[46:47], v[190:191]  // 00000000604C: D3B040BE 1EFA5D9E
	s_add_u32 s60, 0x300, s80                                  // 000000006054: 803C50FF 00000300
	s_cmp_lt_u32 s60, s81                                      // 00000000605C: BF0A513C
	s_cselect_b32 s56, s56, 0                                  // 000000006060: 85388038
	s_cselect_b32 s78, s78, 0                                  // 000000006064: 854E804E
	s_cselect_b32 s79, s79, 0                                  // 000000006068: 854F804F
	s_add_u32 s12, s56, s12                                    // 00000000606C: 800C0C38
	s_addc_u32 s13, 0, s13                                     // 000000006070: 820D0D80
	s_add_u32 s16, s79, s16                                    // 000000006074: 8010104F
	s_addc_u32 s17, 0, s17                                     // 000000006078: 82111180
	v_mov_b32_e32 v46, v23                                     // 00000000607C: 7E5C0317
	v_mov_b32_e32 v47, v23                                     // 000000006080: 7E5E0317
	v_pk_mul_f32 v[176:177], v[46:47], v[176:177]              // 000000006084: D3B140B0 1803612E
	v_pk_mul_f32 v[178:179], v[46:47], v[178:179]              // 00000000608C: D3B140B2 1803652E
	v_pk_mul_f32 v[180:181], v[46:47], v[180:181]              // 000000006094: D3B140B4 1803692E
	v_pk_mul_f32 v[182:183], v[46:47], v[182:183]              // 00000000609C: D3B140B6 18036D2E
	v_pk_mul_f32 v[184:185], v[46:47], v[184:185]              // 0000000060A4: D3B140B8 1803712E
	v_pk_mul_f32 v[186:187], v[46:47], v[186:187]              // 0000000060AC: D3B140BA 1803752E
	v_pk_mul_f32 v[188:189], v[46:47], v[188:189]              // 0000000060B4: D3B140BC 1803792E
	v_pk_mul_f32 v[190:191], v[46:47], v[190:191]              // 0000000060BC: D3B140BE 18037D2E
	v_cvt_pk_bf16_f32 v176, v176, v177                         // 0000000060C4: D26800B0 000363B0
	v_cvt_pk_bf16_f32 v177, v178, v179                         // 0000000060CC: D26800B1 000367B2
	v_cvt_pk_bf16_f32 v178, v180, v181                         // 0000000060D4: D26800B2 00036BB4
	v_cvt_pk_bf16_f32 v179, v182, v183                         // 0000000060DC: D26800B3 00036FB6
	v_cvt_pk_bf16_f32 v180, v184, v185                         // 0000000060E4: D26800B4 000373B8
	v_cvt_pk_bf16_f32 v181, v186, v187                         // 0000000060EC: D26800B5 000377BA
	v_cvt_pk_bf16_f32 v182, v188, v189                         // 0000000060F4: D26800B6 00037BBC
	v_cvt_pk_bf16_f32 v183, v190, v191                         // 0000000060FC: D26800B7 00037FBE
	s_cmp_ge_u32 s80, 0x200                                    // 000000006104: BF09FF50 00000200
	s_cselect_b32 s59, 0x200, s59                              // 00000000610C: 853B3BFF 00000200
	s_waitcnt lgkmcnt(0)                                       // 000000006114: BF8CC07F
	s_barrier                                                  // 000000006118: BF8A0000
	s_setvskip s20, 0                                          // 00000000611C: BF108014
	global_atomic_pk_add_bf16 v80, v64, s[8:9]                 // 000000006120: DD488000 00084050
	s_setvskip 0, 0                                            // 000000006128: BF108080
	s_setvskip s20, 0                                          // 00000000612C: BF108014
	global_atomic_pk_add_bf16 v80, v65, s[8:9] offset:256      // 000000006130: DD488100 00084150
	s_setvskip 0, 0                                            // 000000006138: BF108080
	s_setvskip s20, 1                                          // 00000000613C: BF108114
	global_atomic_pk_add_bf16 v82, v66, s[8:9]                 // 000000006140: DD488000 00084252
	s_setvskip 0, 0                                            // 000000006148: BF108080
	s_setvskip s20, 1                                          // 00000000614C: BF108114
	global_atomic_pk_add_bf16 v82, v67, s[8:9] offset:256      // 000000006150: DD488100 00084352
	s_setvskip 0, 0                                            // 000000006158: BF108080
	s_setvskip s20, 2                                          // 00000000615C: BF108214
	global_atomic_pk_add_bf16 v84, v68, s[8:9]                 // 000000006160: DD488000 00084454
	s_setvskip 0, 0                                            // 000000006168: BF108080
	s_setvskip s20, 2                                          // 00000000616C: BF108214
	global_atomic_pk_add_bf16 v84, v69, s[8:9] offset:256      // 000000006170: DD488100 00084554
	s_setvskip 0, 0                                            // 000000006178: BF108080
	s_setvskip s20, 3                                          // 00000000617C: BF108314
	global_atomic_pk_add_bf16 v86, v70, s[8:9]                 // 000000006180: DD488000 00084656
	s_setvskip 0, 0                                            // 000000006188: BF108080
	s_setvskip s20, 3                                          // 00000000618C: BF108314
	global_atomic_pk_add_bf16 v86, v71, s[8:9] offset:256      // 000000006190: DD488100 00084756
	s_setvskip 0, 0                                            // 000000006198: BF108080
	s_add_u32 s8, s59, s8                                      // 00000000619C: 8008083B
	s_addc_u32 s9, 0, s9                                       // 0000000061A0: 82090980
	s_addk_i32 s80, 0x100                                      // 0000000061A4: B7500100
	s_cmp_lt_i32 s80, s81                                      // 0000000061A8: BF045150
	s_cbranch_scc0 label_0CED                                  // 0000000061AC: BF840001
	s_branch label_07F4                                        // 0000000061B0: BF82FB07

00000000000061b4 <label_0CED>:
	s_nop 0                                                    // 0000000061B4: BF800000
	s_nop 0                                                    // 0000000061B8: BF800000
	s_branch label_16F1                                        // 0000000061BC: BF820A01

00000000000061c0 <label_0CF0>:
	s_waitcnt vmcnt(28) lgkmcnt(0)                             // 0000000061C0: BF8C407C
	s_barrier                                                  // 0000000061C4: BF8A0000
	v_mfma_f32_16x16x128_f8f6f4 v[144:147], a[0:7], v[160:167], 0// 0000000061C8: D3AD0090 0A034100
	buffer_load_dwordx4 v[176:179], v31, s[20:23], 0 offen     // 0000000061D0: E05C1000 8005B01F
	buffer_load_dwordx4 v[180:183], v31, s[20:23], 0 offen offset:16// 0000000061D8: E05C1010 8005B41F
	buffer_load_dword v20, v11, s[32:35], 0 offen              // 0000000061E0: E0501000 8008140B
	buffer_load_dword v22, v13, s[32:35], 0 offen              // 0000000061E8: E0501000 8008160D
	buffer_load_dwordx4 a[128:131], v33, s[24:27], 0 offen     // 0000000061F0: E05C1000 80868021
	buffer_load_dwordx4 a[132:135], v33, s[24:27], 0 offen offset:1024// 0000000061F8: E05C1400 80868421
	buffer_load_dwordx4 a[136:139], v34, s[24:27], 0 offen     // 000000006200: E05C1000 80868822
	buffer_load_dwordx4 a[140:143], v34, s[24:27], 0 offen offset:1024// 000000006208: E05C1400 80868C22
	v_mfma_f32_16x16x128_f8f6f4 v[148:151], a[8:15], v[160:167], 0// 000000006210: D3AD0094 0A034108
	s_waitcnt vmcnt(20)                                        // 000000006218: BF8C4F74
	v_mfma_f32_16x16x128_f8f6f4 v[152:155], a[16:23], v[160:167], 0// 00000000621C: D3AD0098 0A034110
	buffer_load_dwordx4 a[144:147], v35, s[24:27], 0 offen     // 000000006224: E05C1000 80869023
	buffer_load_dwordx4 a[148:151], v35, s[24:27], 0 offen offset:1024// 00000000622C: E05C1400 80869423
	buffer_load_dwordx4 a[152:155], v36, s[24:27], 0 offen     // 000000006234: E05C1000 80869824
	buffer_load_dwordx4 a[156:159], v36, s[24:27], 0 offen offset:1024// 00000000623C: E05C1400 80869C24
	v_mfma_f32_16x16x128_f8f6f4 v[156:159], a[24:31], v[160:167], 0// 000000006244: D3AD009C 0A034118
	v_mul_f32_dpp v46, v19, v15 row_newbcast:0 row_mask:0xf bank_mask:0xf// 00000000624C: 0A5C1EFA FF015013
	v_mov_b32_e32 v47, v46                                     // 000000006254: 7E5E032E
	v_pk_fma_f32 v[128:129], v[144:145], v[46:47], v[128:129]  // 000000006258: D3B04080 1E025D90
	v_pk_fma_f32 v[130:131], v[146:147], v[46:47], v[130:131]  // 000000006260: D3B04082 1E0A5D92
	v_pk_fma_f32 v[132:133], v[148:149], v[46:47], v[132:133]  // 000000006268: D3B04084 1E125D94
	v_pk_fma_f32 v[134:135], v[150:151], v[46:47], v[134:135]  // 000000006270: D3B04086 1E1A5D96
	v_mul_f32_dpp v46, v19, v15 row_newbcast:1 row_mask:0xf bank_mask:0xf// 000000006278: 0A5C1EFA FF015113
	v_mov_b32_e32 v47, v46                                     // 000000006280: 7E5E032E
	v_pk_fma_f32 v[136:137], v[152:153], v[46:47], v[136:137]  // 000000006284: D3B04088 1E225D98
	v_pk_fma_f32 v[138:139], v[154:155], v[46:47], v[138:139]  // 00000000628C: D3B0408A 1E2A5D9A
	v_pk_fma_f32 v[140:141], v[156:157], v[46:47], v[140:141]  // 000000006294: D3B0408C 1E325D9C
	v_pk_fma_f32 v[142:143], v[158:159], v[46:47], v[142:143]  // 00000000629C: D3B0408E 1E3A5D9E
	s_waitcnt vmcnt(20)                                        // 0000000062A4: BF8C4F74
	v_mfma_f32_16x16x128_f8f6f4 v[144:147], a[32:39], v[168:175], 0// 0000000062A8: D3AD0090 0A035120
	buffer_load_dwordx4 a[160:163], v33, s[24:27], 0 offen offset:2048// 0000000062B0: E05C1800 8086A021
	buffer_load_dwordx4 a[164:167], v33, s[24:27], 0 offen offset:3072// 0000000062B8: E05C1C00 8086A421
	buffer_load_dwordx4 a[168:171], v34, s[24:27], 0 offen offset:2048// 0000000062C0: E05C1800 8086A822
	buffer_load_dwordx4 a[172:175], v34, s[24:27], 0 offen offset:3072// 0000000062C8: E05C1C00 8086AC22
	v_mfma_f32_16x16x128_f8f6f4 v[148:151], a[40:47], v[168:175], 0// 0000000062D0: D3AD0094 0A035128
	s_waitcnt vmcnt(20)                                        // 0000000062D8: BF8C4F74
	v_mfma_f32_16x16x128_f8f6f4 v[152:155], a[48:55], v[168:175], 0// 0000000062DC: D3AD0098 0A035130
	buffer_load_dwordx4 a[176:179], v35, s[24:27], 0 offen offset:2048// 0000000062E4: E05C1800 8086B023
	buffer_load_dwordx4 a[180:183], v35, s[24:27], 0 offen offset:3072// 0000000062EC: E05C1C00 8086B423
	buffer_load_dwordx4 a[184:187], v36, s[24:27], 0 offen offset:2048// 0000000062F4: E05C1800 8086B824
	buffer_load_dwordx4 a[188:191], v36, s[24:27], 0 offen offset:3072// 0000000062FC: E05C1C00 8086BC24
	v_mfma_f32_16x16x128_f8f6f4 v[156:159], a[56:63], v[168:175], 0// 000000006304: D3AD009C 0A035138
	v_mul_f32_dpp v46, v19, v16 row_newbcast:2 row_mask:0xf bank_mask:0xf// 00000000630C: 0A5C20FA FF015213
	v_mov_b32_e32 v47, v46                                     // 000000006314: 7E5E032E
	v_pk_fma_f32 v[128:129], v[144:145], v[46:47], v[128:129]  // 000000006318: D3B04080 1E025D90
	v_pk_fma_f32 v[130:131], v[146:147], v[46:47], v[130:131]  // 000000006320: D3B04082 1E0A5D92
	v_pk_fma_f32 v[132:133], v[148:149], v[46:47], v[132:133]  // 000000006328: D3B04084 1E125D94
	v_pk_fma_f32 v[134:135], v[150:151], v[46:47], v[134:135]  // 000000006330: D3B04086 1E1A5D96
	v_mul_f32_dpp v46, v19, v16 row_newbcast:3 row_mask:0xf bank_mask:0xf// 000000006338: 0A5C20FA FF015313
	v_mov_b32_e32 v47, v46                                     // 000000006340: 7E5E032E
	v_pk_fma_f32 v[136:137], v[152:153], v[46:47], v[136:137]  // 000000006344: D3B04088 1E225D98
	v_pk_fma_f32 v[138:139], v[154:155], v[46:47], v[138:139]  // 00000000634C: D3B0408A 1E2A5D9A
	v_pk_fma_f32 v[140:141], v[156:157], v[46:47], v[140:141]  // 000000006354: D3B0408C 1E325D9C
	v_pk_fma_f32 v[142:143], v[158:159], v[46:47], v[142:143]  // 00000000635C: D3B0408E 1E3A5D9E
	s_add_u32 s60, 0x200, s80                                  // 000000006364: 803C50FF 00000200
	s_cmp_lt_u32 s60, s81                                      // 00000000636C: BF0A513C
	s_cselect_b32 s4, s4, 0                                    // 000000006370: 85048004
	s_add_u32 s32, s4, s32                                     // 000000006374: 80202004
	s_addc_u32 s33, 0, s33                                     // 000000006378: 82212180
	s_waitcnt vmcnt(0)                                         // 00000000637C: BF8C0F70
	s_barrier                                                  // 000000006380: BF8A0000
	v_mfma_f32_16x16x128_f8f6f4 v[144:147], a[64:71], v[160:167], 0// 000000006384: D3AD0090 0A034140
	buffer_load_dwordx4 a[192:195], v33, s[92:95], 0 offen     // 00000000638C: E05C1000 8097C021
	buffer_load_dwordx4 a[196:199], v33, s[92:95], 0 offen offset:1024// 000000006394: E05C1400 8097C421
	buffer_load_dwordx4 a[200:203], v34, s[92:95], 0 offen     // 00000000639C: E05C1000 8097C822
	buffer_load_dwordx4 a[204:207], v34, s[92:95], 0 offen offset:1024// 0000000063A4: E05C1400 8097CC22
	v_mfma_f32_16x16x128_f8f6f4 v[148:151], a[72:79], v[160:167], 0// 0000000063AC: D3AD0094 0A034148
	s_waitcnt vmcnt(4)                                         // 0000000063B4: BF8C0F74
	v_mfma_f32_16x16x128_f8f6f4 v[152:155], a[80:87], v[160:167], 0// 0000000063B8: D3AD0098 0A034150
	buffer_load_dwordx4 a[208:211], v35, s[92:95], 0 offen     // 0000000063C0: E05C1000 8097D023
	buffer_load_dwordx4 a[212:215], v35, s[92:95], 0 offen offset:1024// 0000000063C8: E05C1400 8097D423
	buffer_load_dwordx4 a[216:219], v36, s[92:95], 0 offen     // 0000000063D0: E05C1000 8097D824
	buffer_load_dwordx4 a[220:223], v36, s[92:95], 0 offen offset:1024// 0000000063D8: E05C1400 8097DC24
	v_mfma_f32_16x16x128_f8f6f4 v[156:159], a[88:95], v[160:167], 0// 0000000063E0: D3AD009C 0A034158
	s_waitcnt vmcnt(8)                                         // 0000000063E8: BF8C0F78
	v_mov_b32_e32 v26, 0                                       // 0000000063EC: 7E340280
	v_lshlrev_b32_e32 v46, 16, v176                            // 0000000063F0: 245D6090
	v_and_b32_e32 v47, 0xffff0000, v176                        // 0000000063F4: 265F60FF FFFF0000
	v_max3_f32 v26, |v47|, |v46|, v26                          // 0000000063FC: D1D3031A 046A5D2F
	v_lshlrev_b32_e32 v46, 16, v177                            // 000000006404: 245D6290
	v_and_b32_e32 v47, 0xffff0000, v177                        // 000000006408: 265F62FF FFFF0000
	v_max3_f32 v26, |v47|, |v46|, v26                          // 000000006410: D1D3031A 046A5D2F
	v_lshlrev_b32_e32 v46, 16, v178                            // 000000006418: 245D6490
	v_and_b32_e32 v47, 0xffff0000, v178                        // 00000000641C: 265F64FF FFFF0000
	v_max3_f32 v26, |v47|, |v46|, v26                          // 000000006424: D1D3031A 046A5D2F
	v_lshlrev_b32_e32 v46, 16, v179                            // 00000000642C: 245D6690
	v_and_b32_e32 v47, 0xffff0000, v179                        // 000000006430: 265F66FF FFFF0000
	v_max3_f32 v26, |v47|, |v46|, v26                          // 000000006438: D1D3031A 046A5D2F
	v_lshlrev_b32_e32 v46, 16, v180                            // 000000006440: 245D6890
	v_and_b32_e32 v47, 0xffff0000, v180                        // 000000006444: 265F68FF FFFF0000
	v_max3_f32 v26, |v47|, |v46|, v26                          // 00000000644C: D1D3031A 046A5D2F
	v_lshlrev_b32_e32 v46, 16, v181                            // 000000006454: 245D6A90
	v_and_b32_e32 v47, 0xffff0000, v181                        // 000000006458: 265F6AFF FFFF0000
	v_max3_f32 v26, |v47|, |v46|, v26                          // 000000006460: D1D3031A 046A5D2F
	v_lshlrev_b32_e32 v46, 16, v182                            // 000000006468: 245D6C90
	v_and_b32_e32 v47, 0xffff0000, v182                        // 00000000646C: 265F6CFF FFFF0000
	v_max3_f32 v26, |v47|, |v46|, v26                          // 000000006474: D1D3031A 046A5D2F
	v_lshlrev_b32_e32 v46, 16, v183                            // 00000000647C: 245D6E90
	v_and_b32_e32 v47, 0xffff0000, v183                        // 000000006480: 265F6EFF FFFF0000
	v_max3_f32 v26, |v47|, |v46|, v26                          // 000000006488: D1D3031A 046A5D2F
	s_barrier                                                  // 000000006490: BF8A0000
	v_max_f32_dpp v27, v26, v26 quad_perm:[1,2,3,0] row_mask:0xf bank_mask:0xf// 000000006494: 163634FA FF00391A
	s_nop 1                                                    // 00000000649C: BF800001
	v_max_f32_dpp v46, v27, v27 quad_perm:[2,3,0,1] row_mask:0xf bank_mask:0xf// 0000000064A0: 165C36FA FF004E1B
	s_nop 1                                                    // 0000000064A8: BF800001
	v_max_f32_dpp v26, v46, v46 row_half_mirror row_mask:0xf bank_mask:0xf// 0000000064AC: 16345CFA FF01412E
	v_rcp_f32_e32 v46, v26                                     // 0000000064B4: 7E5C451A
	v_mov_b32_e32 v47, 0x43e00000                              // 0000000064B8: 7E5E02FF 43E00000
	v_mul_f32_e32 v27, v47, v46                                // 0000000064C0: 0A365D2F
	v_mov_b32_e32 v26, v27                                     // 0000000064C4: 7E34031B
	v_lshlrev_b32_e32 v46, 16, v176                            // 0000000064C8: 245D6090
	v_and_b32_e32 v47, 0xffff0000, v176                        // 0000000064CC: 265F60FF FFFF0000
	v_pk_mul_f32 v[46:47], v[46:47], v[26:27]                  // 0000000064D4: D3B1402E 1802352E
	v_cvt_pk_fp8_f32 v176, v46, v47                            // 0000000064DC: D2A200B0 00025F2E
	v_lshlrev_b32_e32 v46, 16, v177                            // 0000000064E4: 245D6290
	v_and_b32_e32 v47, 0xffff0000, v177                        // 0000000064E8: 265F62FF FFFF0000
	v_pk_mul_f32 v[46:47], v[46:47], v[26:27]                  // 0000000064F0: D3B1402E 1802352E
	v_cvt_pk_fp8_f32 v176, v46, v47 op_sel:[0,0,1]             // 0000000064F8: D2A240B0 00025F2E
	v_lshlrev_b32_e32 v46, 16, v178                            // 000000006500: 245D6490
	v_and_b32_e32 v47, 0xffff0000, v178                        // 000000006504: 265F64FF FFFF0000
	v_pk_mul_f32 v[46:47], v[46:47], v[26:27]                  // 00000000650C: D3B1402E 1802352E
	v_cvt_pk_fp8_f32 v177, v46, v47                            // 000000006514: D2A200B1 00025F2E
	v_lshlrev_b32_e32 v46, 16, v179                            // 00000000651C: 245D6690
	v_and_b32_e32 v47, 0xffff0000, v179                        // 000000006520: 265F66FF FFFF0000
	v_pk_mul_f32 v[46:47], v[46:47], v[26:27]                  // 000000006528: D3B1402E 1802352E
	v_cvt_pk_fp8_f32 v177, v46, v47 op_sel:[0,0,1]             // 000000006530: D2A240B1 00025F2E
	v_lshlrev_b32_e32 v46, 16, v180                            // 000000006538: 245D6890
	v_and_b32_e32 v47, 0xffff0000, v180                        // 00000000653C: 265F68FF FFFF0000
	v_pk_mul_f32 v[46:47], v[46:47], v[26:27]                  // 000000006544: D3B1402E 1802352E
	v_cvt_pk_fp8_f32 v178, v46, v47                            // 00000000654C: D2A200B2 00025F2E
	v_lshlrev_b32_e32 v46, 16, v181                            // 000000006554: 245D6A90
	v_and_b32_e32 v47, 0xffff0000, v181                        // 000000006558: 265F6AFF FFFF0000
	v_pk_mul_f32 v[46:47], v[46:47], v[26:27]                  // 000000006560: D3B1402E 1802352E
	v_cvt_pk_fp8_f32 v178, v46, v47 op_sel:[0,0,1]             // 000000006568: D2A240B2 00025F2E
	v_lshlrev_b32_e32 v46, 16, v182                            // 000000006570: 245D6C90
	v_and_b32_e32 v47, 0xffff0000, v182                        // 000000006574: 265F6CFF FFFF0000
	v_pk_mul_f32 v[46:47], v[46:47], v[26:27]                  // 00000000657C: D3B1402E 1802352E
	v_cvt_pk_fp8_f32 v179, v46, v47                            // 000000006584: D2A200B3 00025F2E
	v_lshlrev_b32_e32 v46, 16, v183                            // 00000000658C: 245D6E90
	v_and_b32_e32 v47, 0xffff0000, v183                        // 000000006590: 265F6EFF FFFF0000
	v_pk_mul_f32 v[46:47], v[46:47], v[26:27]                  // 000000006598: D3B1402E 1802352E
	v_cvt_pk_fp8_f32 v179, v46, v47 op_sel:[0,0,1]             // 0000000065A0: D2A240B3 00025F2E
	v_lshlrev_b32_e32 v46, 4, v0                               // 0000000065A8: 245C0084
	v_add_u32_e64 v46, v46, s51                                // 0000000065AC: D134002E 0000672E
	ds_write_b128 v46, v[176:179]                              // 0000000065B4: D9BE0000 0000B02E
	v_rcp_f32_e32 v28, v27                                     // 0000000065BC: 7E38451B
	v_add_u32_e32 v46, 0, v30                                  // 0000000065C0: 685C3C80
	s_mov_b64 s[60:61], exec                                   // 0000000065C4: BEBC017E
	s_mov_b32 s62, 0xf0f0f0f                                   // 0000000065C8: BEBE00FF 0F0F0F0F
	s_mov_b32 s63, 0xf0f0f0f                                   // 0000000065D0: BEBF00FF 0F0F0F0F
	s_mov_b64 exec, s[62:63]                                   // 0000000065D8: BEFE013E
	ds_write_b32 v46, v28 offset:9728                          // 0000000065DC: D81A2600 00001C2E
	s_mov_b64 exec, s[60:61]                                   // 0000000065E4: BEFE013C
	v_mul_f32_dpp v46, v21, v15 row_newbcast:0 row_mask:0xf bank_mask:0xf// 0000000065E8: 0A5C1EFA FF015015
	v_mov_b32_e32 v47, v46                                     // 0000000065F0: 7E5E032E
	v_pk_fma_f32 v[64:65], v[144:145], v[46:47], v[64:65]      // 0000000065F4: D3B04040 1D025D90
	v_pk_fma_f32 v[66:67], v[146:147], v[46:47], v[66:67]      // 0000000065FC: D3B04042 1D0A5D92
	v_pk_fma_f32 v[68:69], v[148:149], v[46:47], v[68:69]      // 000000006604: D3B04044 1D125D94
	v_pk_fma_f32 v[70:71], v[150:151], v[46:47], v[70:71]      // 00000000660C: D3B04046 1D1A5D96
	v_mul_f32_dpp v46, v21, v15 row_newbcast:1 row_mask:0xf bank_mask:0xf// 000000006614: 0A5C1EFA FF015115
	v_mov_b32_e32 v47, v46                                     // 00000000661C: 7E5E032E
	v_pk_fma_f32 v[72:73], v[152:153], v[46:47], v[72:73]      // 000000006620: D3B04048 1D225D98
	v_pk_fma_f32 v[74:75], v[154:155], v[46:47], v[74:75]      // 000000006628: D3B0404A 1D2A5D9A
	v_pk_fma_f32 v[76:77], v[156:157], v[46:47], v[76:77]      // 000000006630: D3B0404C 1D325D9C
	v_pk_fma_f32 v[78:79], v[158:159], v[46:47], v[78:79]      // 000000006638: D3B0404E 1D3A5D9E
	s_waitcnt vmcnt(4)                                         // 000000006640: BF8C0F74
	v_mfma_f32_16x16x128_f8f6f4 v[144:147], a[96:103], v[168:175], 0// 000000006644: D3AD0090 0A035160
	buffer_load_dwordx4 a[224:227], v33, s[92:95], 0 offen offset:2048// 00000000664C: E05C1800 8097E021
	buffer_load_dwordx4 a[228:231], v33, s[92:95], 0 offen offset:3072// 000000006654: E05C1C00 8097E421
	buffer_load_dwordx4 a[232:235], v34, s[92:95], 0 offen offset:2048// 00000000665C: E05C1800 8097E822
	buffer_load_dwordx4 a[236:239], v34, s[92:95], 0 offen offset:3072// 000000006664: E05C1C00 8097EC22
	v_mfma_f32_16x16x128_f8f6f4 v[148:151], a[104:111], v[168:175], 0// 00000000666C: D3AD0094 0A035168
	s_waitcnt lgkmcnt(0)                                       // 000000006674: BF8CC07F
	s_barrier                                                  // 000000006678: BF8A0000
	ds_read_b128 v[176:179], v2 offset:5376                    // 00000000667C: D9FE1500 B0000002
	ds_read_b128 v[180:183], v2 offset:5440                    // 000000006684: D9FE1540 B4000002
	ds_read_b32 v17, v3 offset:9728                            // 00000000668C: D86C2600 11000003
	s_waitcnt vmcnt(4)                                         // 000000006694: BF8C0F74
	v_mfma_f32_16x16x128_f8f6f4 v[152:155], a[112:119], v[168:175], 0// 000000006698: D3AD0098 0A035170
	buffer_load_dwordx4 a[240:243], v35, s[92:95], 0 offen offset:2048// 0000000066A0: E05C1800 8097F023
	buffer_load_dwordx4 a[244:247], v35, s[92:95], 0 offen offset:3072// 0000000066A8: E05C1C00 8097F423
	buffer_load_dwordx4 a[248:251], v36, s[92:95], 0 offen offset:2048// 0000000066B0: E05C1800 8097F824
	buffer_load_dwordx4 a[252:255], v36, s[92:95], 0 offen offset:3072// 0000000066B8: E05C1C00 8097FC24
	v_mfma_f32_16x16x128_f8f6f4 v[156:159], a[120:127], v[168:175], 0// 0000000066C0: D3AD009C 0A035178
	ds_read_b128 v[184:187], v2 offset:5888                    // 0000000066C8: D9FE1700 B8000002
	ds_read_b128 v[188:191], v2 offset:5952                    // 0000000066D0: D9FE1740 BC000002
	ds_read_b32 v18, v3 offset:9984                            // 0000000066D8: D86C2700 12000003
	v_mul_f32_dpp v46, v21, v16 row_newbcast:2 row_mask:0xf bank_mask:0xf// 0000000066E0: 0A5C20FA FF015215
	v_mov_b32_e32 v47, v46                                     // 0000000066E8: 7E5E032E
	v_pk_fma_f32 v[64:65], v[144:145], v[46:47], v[64:65]      // 0000000066EC: D3B04040 1D025D90
	v_pk_fma_f32 v[66:67], v[146:147], v[46:47], v[66:67]      // 0000000066F4: D3B04042 1D0A5D92
	v_pk_fma_f32 v[68:69], v[148:149], v[46:47], v[68:69]      // 0000000066FC: D3B04044 1D125D94
	v_pk_fma_f32 v[70:71], v[150:151], v[46:47], v[70:71]      // 000000006704: D3B04046 1D1A5D96
	v_mul_f32_dpp v46, v21, v16 row_newbcast:3 row_mask:0xf bank_mask:0xf// 00000000670C: 0A5C20FA FF015315
	v_mov_b32_e32 v47, v46                                     // 000000006714: 7E5E032E
	v_pk_fma_f32 v[72:73], v[152:153], v[46:47], v[72:73]      // 000000006718: D3B04048 1D225D98
	v_pk_fma_f32 v[74:75], v[154:155], v[46:47], v[74:75]      // 000000006720: D3B0404A 1D2A5D9A
	v_pk_fma_f32 v[76:77], v[156:157], v[46:47], v[76:77]      // 000000006728: D3B0404C 1D325D9C
	v_pk_fma_f32 v[78:79], v[158:159], v[46:47], v[78:79]      // 000000006730: D3B0404E 1D3A5D9E
	s_add_u32 s60, 0x200, s80                                  // 000000006738: 803C50FF 00000200
	s_cmp_lt_u32 s60, s81                                      // 000000006740: BF0A513C
	s_cselect_b32 s57, s57, 0                                  // 000000006744: 85398039
	s_add_u32 s60, 0x200, s80                                  // 000000006748: 803C50FF 00000200
	s_cmp_lt_u32 s60, s81                                      // 000000006750: BF0A513C
	s_cselect_b32 s58, s58, 0                                  // 000000006754: 853A803A
	s_cselect_b32 s90, s90, 0                                  // 000000006758: 855A805A
	s_add_u32 s20, s57, s20                                    // 00000000675C: 80141439
	s_addc_u32 s21, 0, s21                                     // 000000006760: 82151580
	s_add_u32 s24, s58, s24                                    // 000000006764: 8018183A
	s_addc_u32 s25, 0, s25                                     // 000000006768: 82191980
	s_add_u32 s92, s90, s92                                    // 00000000676C: 805C5C5A
	s_addc_u32 s93, 0, s93                                     // 000000006770: 825D5D80
	s_addk_i32 s80, 0x100                                      // 000000006774: B7500100
	s_cmp_lt_i32 s80, s81                                      // 000000006778: BF045150
	s_cbranch_scc0 label_0FD1                                  // 00000000677C: BF840171
	s_waitcnt vmcnt(28) lgkmcnt(0)                             // 000000006780: BF8C407C
	s_barrier                                                  // 000000006784: BF8A0000
	v_mfma_f32_16x16x128_f8f6f4 v[144:147], a[128:135], v[176:183], 0// 000000006788: D3AD0090 0A036180
	buffer_load_dwordx4 v[160:163], v31, s[20:23], 0 offen     // 000000006790: E05C1000 8005A01F
	buffer_load_dwordx4 v[164:167], v31, s[20:23], 0 offen offset:16// 000000006798: E05C1010 8005A41F
	buffer_load_dword v19, v11, s[32:35], 0 offen              // 0000000067A0: E0501000 8008130B
	buffer_load_dword v21, v13, s[32:35], 0 offen              // 0000000067A8: E0501000 8008150D
	buffer_load_dwordx4 a[0:3], v33, s[24:27], 0 offen         // 0000000067B0: E05C1000 80860021
	buffer_load_dwordx4 a[4:7], v33, s[24:27], 0 offen offset:1024// 0000000067B8: E05C1400 80860421
	buffer_load_dwordx4 a[8:11], v34, s[24:27], 0 offen        // 0000000067C0: E05C1000 80860822
	buffer_load_dwordx4 a[12:15], v34, s[24:27], 0 offen offset:1024// 0000000067C8: E05C1400 80860C22
	v_mfma_f32_16x16x128_f8f6f4 v[148:151], a[136:143], v[176:183], 0// 0000000067D0: D3AD0094 0A036188
	s_waitcnt vmcnt(20)                                        // 0000000067D8: BF8C4F74
	v_mfma_f32_16x16x128_f8f6f4 v[152:155], a[144:151], v[176:183], 0// 0000000067DC: D3AD0098 0A036190
	buffer_load_dwordx4 a[16:19], v35, s[24:27], 0 offen       // 0000000067E4: E05C1000 80861023
	buffer_load_dwordx4 a[20:23], v35, s[24:27], 0 offen offset:1024// 0000000067EC: E05C1400 80861423
	buffer_load_dwordx4 a[24:27], v36, s[24:27], 0 offen       // 0000000067F4: E05C1000 80861824
	buffer_load_dwordx4 a[28:31], v36, s[24:27], 0 offen offset:1024// 0000000067FC: E05C1400 80861C24
	v_mfma_f32_16x16x128_f8f6f4 v[156:159], a[152:159], v[176:183], 0// 000000006804: D3AD009C 0A036198
	v_mul_f32_dpp v46, v20, v17 row_newbcast:0 row_mask:0xf bank_mask:0xf// 00000000680C: 0A5C22FA FF015014
	v_mov_b32_e32 v47, v46                                     // 000000006814: 7E5E032E
	v_pk_fma_f32 v[128:129], v[144:145], v[46:47], v[128:129]  // 000000006818: D3B04080 1E025D90
	v_pk_fma_f32 v[130:131], v[146:147], v[46:47], v[130:131]  // 000000006820: D3B04082 1E0A5D92
	v_pk_fma_f32 v[132:133], v[148:149], v[46:47], v[132:133]  // 000000006828: D3B04084 1E125D94
	v_pk_fma_f32 v[134:135], v[150:151], v[46:47], v[134:135]  // 000000006830: D3B04086 1E1A5D96
	v_mul_f32_dpp v46, v20, v17 row_newbcast:1 row_mask:0xf bank_mask:0xf// 000000006838: 0A5C22FA FF015114
	v_mov_b32_e32 v47, v46                                     // 000000006840: 7E5E032E
	v_pk_fma_f32 v[136:137], v[152:153], v[46:47], v[136:137]  // 000000006844: D3B04088 1E225D98
	v_pk_fma_f32 v[138:139], v[154:155], v[46:47], v[138:139]  // 00000000684C: D3B0408A 1E2A5D9A
	v_pk_fma_f32 v[140:141], v[156:157], v[46:47], v[140:141]  // 000000006854: D3B0408C 1E325D9C
	v_pk_fma_f32 v[142:143], v[158:159], v[46:47], v[142:143]  // 00000000685C: D3B0408E 1E3A5D9E
	s_waitcnt vmcnt(20)                                        // 000000006864: BF8C4F74
	v_mfma_f32_16x16x128_f8f6f4 v[144:147], a[160:167], v[184:191], 0// 000000006868: D3AD0090 0A0371A0
	buffer_load_dwordx4 a[32:35], v33, s[24:27], 0 offen offset:2048// 000000006870: E05C1800 80862021
	buffer_load_dwordx4 a[36:39], v33, s[24:27], 0 offen offset:3072// 000000006878: E05C1C00 80862421
	buffer_load_dwordx4 a[40:43], v34, s[24:27], 0 offen offset:2048// 000000006880: E05C1800 80862822
	buffer_load_dwordx4 a[44:47], v34, s[24:27], 0 offen offset:3072// 000000006888: E05C1C00 80862C22
	v_mfma_f32_16x16x128_f8f6f4 v[148:151], a[168:175], v[184:191], 0// 000000006890: D3AD0094 0A0371A8
	s_waitcnt vmcnt(20)                                        // 000000006898: BF8C4F74
	v_mfma_f32_16x16x128_f8f6f4 v[152:155], a[176:183], v[184:191], 0// 00000000689C: D3AD0098 0A0371B0
	buffer_load_dwordx4 a[48:51], v35, s[24:27], 0 offen offset:2048// 0000000068A4: E05C1800 80863023
	buffer_load_dwordx4 a[52:55], v35, s[24:27], 0 offen offset:3072// 0000000068AC: E05C1C00 80863423
	buffer_load_dwordx4 a[56:59], v36, s[24:27], 0 offen offset:2048// 0000000068B4: E05C1800 80863824
	buffer_load_dwordx4 a[60:63], v36, s[24:27], 0 offen offset:3072// 0000000068BC: E05C1C00 80863C24
	v_mfma_f32_16x16x128_f8f6f4 v[156:159], a[184:191], v[184:191], 0// 0000000068C4: D3AD009C 0A0371B8
	v_mul_f32_dpp v46, v20, v18 row_newbcast:2 row_mask:0xf bank_mask:0xf// 0000000068CC: 0A5C24FA FF015214
	v_mov_b32_e32 v47, v46                                     // 0000000068D4: 7E5E032E
	v_pk_fma_f32 v[128:129], v[144:145], v[46:47], v[128:129]  // 0000000068D8: D3B04080 1E025D90
	v_pk_fma_f32 v[130:131], v[146:147], v[46:47], v[130:131]  // 0000000068E0: D3B04082 1E0A5D92
	v_pk_fma_f32 v[132:133], v[148:149], v[46:47], v[132:133]  // 0000000068E8: D3B04084 1E125D94
	v_pk_fma_f32 v[134:135], v[150:151], v[46:47], v[134:135]  // 0000000068F0: D3B04086 1E1A5D96
	v_mul_f32_dpp v46, v20, v18 row_newbcast:3 row_mask:0xf bank_mask:0xf// 0000000068F8: 0A5C24FA FF015314
	v_mov_b32_e32 v47, v46                                     // 000000006900: 7E5E032E
	v_pk_fma_f32 v[136:137], v[152:153], v[46:47], v[136:137]  // 000000006904: D3B04088 1E225D98
	v_pk_fma_f32 v[138:139], v[154:155], v[46:47], v[138:139]  // 00000000690C: D3B0408A 1E2A5D9A
	v_pk_fma_f32 v[140:141], v[156:157], v[46:47], v[140:141]  // 000000006914: D3B0408C 1E325D9C
	v_pk_fma_f32 v[142:143], v[158:159], v[46:47], v[142:143]  // 00000000691C: D3B0408E 1E3A5D9E
	s_add_u32 s60, 0x200, s80                                  // 000000006924: 803C50FF 00000200
	s_cmp_lt_u32 s60, s81                                      // 00000000692C: BF0A513C
	s_cselect_b32 s4, s4, 0                                    // 000000006930: 85048004
	s_add_u32 s32, s4, s32                                     // 000000006934: 80202004
	s_addc_u32 s33, 0, s33                                     // 000000006938: 82212180
	s_waitcnt vmcnt(0)                                         // 00000000693C: BF8C0F70
	s_barrier                                                  // 000000006940: BF8A0000
	v_mfma_f32_16x16x128_f8f6f4 v[144:147], a[192:199], v[176:183], 0// 000000006944: D3AD0090 0A0361C0
	buffer_load_dwordx4 a[64:67], v33, s[92:95], 0 offen       // 00000000694C: E05C1000 80974021
	buffer_load_dwordx4 a[68:71], v33, s[92:95], 0 offen offset:1024// 000000006954: E05C1400 80974421
	buffer_load_dwordx4 a[72:75], v34, s[92:95], 0 offen       // 00000000695C: E05C1000 80974822
	buffer_load_dwordx4 a[76:79], v34, s[92:95], 0 offen offset:1024// 000000006964: E05C1400 80974C22
	v_mfma_f32_16x16x128_f8f6f4 v[148:151], a[200:207], v[176:183], 0// 00000000696C: D3AD0094 0A0361C8
	s_waitcnt vmcnt(4)                                         // 000000006974: BF8C0F74
	v_mfma_f32_16x16x128_f8f6f4 v[152:155], a[208:215], v[176:183], 0// 000000006978: D3AD0098 0A0361D0
	buffer_load_dwordx4 a[80:83], v35, s[92:95], 0 offen       // 000000006980: E05C1000 80975023
	buffer_load_dwordx4 a[84:87], v35, s[92:95], 0 offen offset:1024// 000000006988: E05C1400 80975423
	buffer_load_dwordx4 a[88:91], v36, s[92:95], 0 offen       // 000000006990: E05C1000 80975824
	buffer_load_dwordx4 a[92:95], v36, s[92:95], 0 offen offset:1024// 000000006998: E05C1400 80975C24
	v_mfma_f32_16x16x128_f8f6f4 v[156:159], a[216:223], v[176:183], 0// 0000000069A0: D3AD009C 0A0361D8
	s_waitcnt vmcnt(8)                                         // 0000000069A8: BF8C0F78
	v_mov_b32_e32 v26, 0                                       // 0000000069AC: 7E340280
	v_lshlrev_b32_e32 v46, 16, v160                            // 0000000069B0: 245D4090
	v_and_b32_e32 v47, 0xffff0000, v160                        // 0000000069B4: 265F40FF FFFF0000
	v_max3_f32 v26, |v47|, |v46|, v26                          // 0000000069BC: D1D3031A 046A5D2F
	v_lshlrev_b32_e32 v46, 16, v161                            // 0000000069C4: 245D4290
	v_and_b32_e32 v47, 0xffff0000, v161                        // 0000000069C8: 265F42FF FFFF0000
	v_max3_f32 v26, |v47|, |v46|, v26                          // 0000000069D0: D1D3031A 046A5D2F
	v_lshlrev_b32_e32 v46, 16, v162                            // 0000000069D8: 245D4490
	v_and_b32_e32 v47, 0xffff0000, v162                        // 0000000069DC: 265F44FF FFFF0000
	v_max3_f32 v26, |v47|, |v46|, v26                          // 0000000069E4: D1D3031A 046A5D2F
	v_lshlrev_b32_e32 v46, 16, v163                            // 0000000069EC: 245D4690
	v_and_b32_e32 v47, 0xffff0000, v163                        // 0000000069F0: 265F46FF FFFF0000
	v_max3_f32 v26, |v47|, |v46|, v26                          // 0000000069F8: D1D3031A 046A5D2F
	v_lshlrev_b32_e32 v46, 16, v164                            // 000000006A00: 245D4890
	v_and_b32_e32 v47, 0xffff0000, v164                        // 000000006A04: 265F48FF FFFF0000
	v_max3_f32 v26, |v47|, |v46|, v26                          // 000000006A0C: D1D3031A 046A5D2F
	v_lshlrev_b32_e32 v46, 16, v165                            // 000000006A14: 245D4A90
	v_and_b32_e32 v47, 0xffff0000, v165                        // 000000006A18: 265F4AFF FFFF0000
	v_max3_f32 v26, |v47|, |v46|, v26                          // 000000006A20: D1D3031A 046A5D2F
	v_lshlrev_b32_e32 v46, 16, v166                            // 000000006A28: 245D4C90
	v_and_b32_e32 v47, 0xffff0000, v166                        // 000000006A2C: 265F4CFF FFFF0000
	v_max3_f32 v26, |v47|, |v46|, v26                          // 000000006A34: D1D3031A 046A5D2F
	v_lshlrev_b32_e32 v46, 16, v167                            // 000000006A3C: 245D4E90
	v_and_b32_e32 v47, 0xffff0000, v167                        // 000000006A40: 265F4EFF FFFF0000
	v_max3_f32 v26, |v47|, |v46|, v26                          // 000000006A48: D1D3031A 046A5D2F
	s_barrier                                                  // 000000006A50: BF8A0000
	v_max_f32_dpp v27, v26, v26 quad_perm:[1,2,3,0] row_mask:0xf bank_mask:0xf// 000000006A54: 163634FA FF00391A
	s_nop 1                                                    // 000000006A5C: BF800001
	v_max_f32_dpp v46, v27, v27 quad_perm:[2,3,0,1] row_mask:0xf bank_mask:0xf// 000000006A60: 165C36FA FF004E1B
	s_nop 1                                                    // 000000006A68: BF800001
	v_max_f32_dpp v26, v46, v46 row_half_mirror row_mask:0xf bank_mask:0xf// 000000006A6C: 16345CFA FF01412E
	v_rcp_f32_e32 v46, v26                                     // 000000006A74: 7E5C451A
	v_mov_b32_e32 v47, 0x43e00000                              // 000000006A78: 7E5E02FF 43E00000
	v_mul_f32_e32 v27, v47, v46                                // 000000006A80: 0A365D2F
	v_mov_b32_e32 v26, v27                                     // 000000006A84: 7E34031B
	v_lshlrev_b32_e32 v46, 16, v160                            // 000000006A88: 245D4090
	v_and_b32_e32 v47, 0xffff0000, v160                        // 000000006A8C: 265F40FF FFFF0000
	v_pk_mul_f32 v[46:47], v[46:47], v[26:27]                  // 000000006A94: D3B1402E 1802352E
	v_cvt_pk_fp8_f32 v160, v46, v47                            // 000000006A9C: D2A200A0 00025F2E
	v_lshlrev_b32_e32 v46, 16, v161                            // 000000006AA4: 245D4290
	v_and_b32_e32 v47, 0xffff0000, v161                        // 000000006AA8: 265F42FF FFFF0000
	v_pk_mul_f32 v[46:47], v[46:47], v[26:27]                  // 000000006AB0: D3B1402E 1802352E
	v_cvt_pk_fp8_f32 v160, v46, v47 op_sel:[0,0,1]             // 000000006AB8: D2A240A0 00025F2E
	v_lshlrev_b32_e32 v46, 16, v162                            // 000000006AC0: 245D4490
	v_and_b32_e32 v47, 0xffff0000, v162                        // 000000006AC4: 265F44FF FFFF0000
	v_pk_mul_f32 v[46:47], v[46:47], v[26:27]                  // 000000006ACC: D3B1402E 1802352E
	v_cvt_pk_fp8_f32 v161, v46, v47                            // 000000006AD4: D2A200A1 00025F2E
	v_lshlrev_b32_e32 v46, 16, v163                            // 000000006ADC: 245D4690
	v_and_b32_e32 v47, 0xffff0000, v163                        // 000000006AE0: 265F46FF FFFF0000
	v_pk_mul_f32 v[46:47], v[46:47], v[26:27]                  // 000000006AE8: D3B1402E 1802352E
	v_cvt_pk_fp8_f32 v161, v46, v47 op_sel:[0,0,1]             // 000000006AF0: D2A240A1 00025F2E
	v_lshlrev_b32_e32 v46, 16, v164                            // 000000006AF8: 245D4890
	v_and_b32_e32 v47, 0xffff0000, v164                        // 000000006AFC: 265F48FF FFFF0000
	v_pk_mul_f32 v[46:47], v[46:47], v[26:27]                  // 000000006B04: D3B1402E 1802352E
	v_cvt_pk_fp8_f32 v162, v46, v47                            // 000000006B0C: D2A200A2 00025F2E
	v_lshlrev_b32_e32 v46, 16, v165                            // 000000006B14: 245D4A90
	v_and_b32_e32 v47, 0xffff0000, v165                        // 000000006B18: 265F4AFF FFFF0000
	v_pk_mul_f32 v[46:47], v[46:47], v[26:27]                  // 000000006B20: D3B1402E 1802352E
	v_cvt_pk_fp8_f32 v162, v46, v47 op_sel:[0,0,1]             // 000000006B28: D2A240A2 00025F2E
	v_lshlrev_b32_e32 v46, 16, v166                            // 000000006B30: 245D4C90
	v_and_b32_e32 v47, 0xffff0000, v166                        // 000000006B34: 265F4CFF FFFF0000
	v_pk_mul_f32 v[46:47], v[46:47], v[26:27]                  // 000000006B3C: D3B1402E 1802352E
	v_cvt_pk_fp8_f32 v163, v46, v47                            // 000000006B44: D2A200A3 00025F2E
	v_lshlrev_b32_e32 v46, 16, v167                            // 000000006B4C: 245D4E90
	v_and_b32_e32 v47, 0xffff0000, v167                        // 000000006B50: 265F4EFF FFFF0000
	v_pk_mul_f32 v[46:47], v[46:47], v[26:27]                  // 000000006B58: D3B1402E 1802352E
	v_cvt_pk_fp8_f32 v163, v46, v47 op_sel:[0,0,1]             // 000000006B60: D2A240A3 00025F2E
	v_lshlrev_b32_e32 v46, 4, v0                               // 000000006B68: 245C0084
	v_add_u32_e64 v46, v46, s50                                // 000000006B6C: D134002E 0000652E
	ds_write_b128 v46, v[160:163]                              // 000000006B74: D9BE0000 0000A02E
	v_rcp_f32_e32 v28, v27                                     // 000000006B7C: 7E38451B
	v_add_u32_e32 v46, 0, v30                                  // 000000006B80: 685C3C80
	s_mov_b64 s[60:61], exec                                   // 000000006B84: BEBC017E
	s_mov_b32 s62, 0xf0f0f0f                                   // 000000006B88: BEBE00FF 0F0F0F0F
	s_mov_b32 s63, 0xf0f0f0f                                   // 000000006B90: BEBF00FF 0F0F0F0F
	s_mov_b64 exec, s[62:63]                                   // 000000006B98: BEFE013E
	ds_write_b32 v46, v28 offset:4352                          // 000000006B9C: D81A1100 00001C2E
	s_mov_b64 exec, s[60:61]                                   // 000000006BA4: BEFE013C
	v_mul_f32_dpp v46, v22, v17 row_newbcast:0 row_mask:0xf bank_mask:0xf// 000000006BA8: 0A5C22FA FF015016
	v_mov_b32_e32 v47, v46                                     // 000000006BB0: 7E5E032E
	v_pk_fma_f32 v[64:65], v[144:145], v[46:47], v[64:65]      // 000000006BB4: D3B04040 1D025D90
	v_pk_fma_f32 v[66:67], v[146:147], v[46:47], v[66:67]      // 000000006BBC: D3B04042 1D0A5D92
	v_pk_fma_f32 v[68:69], v[148:149], v[46:47], v[68:69]      // 000000006BC4: D3B04044 1D125D94
	v_pk_fma_f32 v[70:71], v[150:151], v[46:47], v[70:71]      // 000000006BCC: D3B04046 1D1A5D96
	v_mul_f32_dpp v46, v22, v17 row_newbcast:1 row_mask:0xf bank_mask:0xf// 000000006BD4: 0A5C22FA FF015116
	v_mov_b32_e32 v47, v46                                     // 000000006BDC: 7E5E032E
	v_pk_fma_f32 v[72:73], v[152:153], v[46:47], v[72:73]      // 000000006BE0: D3B04048 1D225D98
	v_pk_fma_f32 v[74:75], v[154:155], v[46:47], v[74:75]      // 000000006BE8: D3B0404A 1D2A5D9A
	v_pk_fma_f32 v[76:77], v[156:157], v[46:47], v[76:77]      // 000000006BF0: D3B0404C 1D325D9C
	v_pk_fma_f32 v[78:79], v[158:159], v[46:47], v[78:79]      // 000000006BF8: D3B0404E 1D3A5D9E
	s_waitcnt vmcnt(4)                                         // 000000006C00: BF8C0F74
	v_mfma_f32_16x16x128_f8f6f4 v[144:147], a[224:231], v[184:191], 0// 000000006C04: D3AD0090 0A0371E0
	buffer_load_dwordx4 a[96:99], v33, s[92:95], 0 offen offset:2048// 000000006C0C: E05C1800 80976021
	buffer_load_dwordx4 a[100:103], v33, s[92:95], 0 offen offset:3072// 000000006C14: E05C1C00 80976421
	buffer_load_dwordx4 a[104:107], v34, s[92:95], 0 offen offset:2048// 000000006C1C: E05C1800 80976822
	buffer_load_dwordx4 a[108:111], v34, s[92:95], 0 offen offset:3072// 000000006C24: E05C1C00 80976C22
	v_mfma_f32_16x16x128_f8f6f4 v[148:151], a[232:239], v[184:191], 0// 000000006C2C: D3AD0094 0A0371E8
	s_waitcnt lgkmcnt(0)                                       // 000000006C34: BF8CC07F
	s_barrier                                                  // 000000006C38: BF8A0000
	ds_read_b128 v[160:163], v2                                // 000000006C3C: D9FE0000 A0000002
	ds_read_b128 v[164:167], v2 offset:64                      // 000000006C44: D9FE0040 A4000002
	ds_read_b32 v15, v3 offset:4352                            // 000000006C4C: D86C1100 0F000003
	s_waitcnt vmcnt(4)                                         // 000000006C54: BF8C0F74
	v_mfma_f32_16x16x128_f8f6f4 v[152:155], a[240:247], v[184:191], 0// 000000006C58: D3AD0098 0A0371F0
	buffer_load_dwordx4 a[112:115], v35, s[92:95], 0 offen offset:2048// 000000006C60: E05C1800 80977023
	buffer_load_dwordx4 a[116:119], v35, s[92:95], 0 offen offset:3072// 000000006C68: E05C1C00 80977423
	buffer_load_dwordx4 a[120:123], v36, s[92:95], 0 offen offset:2048// 000000006C70: E05C1800 80977824
	buffer_load_dwordx4 a[124:127], v36, s[92:95], 0 offen offset:3072// 000000006C78: E05C1C00 80977C24
	v_mfma_f32_16x16x128_f8f6f4 v[156:159], a[248:255], v[184:191], 0// 000000006C80: D3AD009C 0A0371F8
	ds_read_b128 v[168:171], v2 offset:512                     // 000000006C88: D9FE0200 A8000002
	ds_read_b128 v[172:175], v2 offset:576                     // 000000006C90: D9FE0240 AC000002
	ds_read_b32 v16, v3 offset:4608                            // 000000006C98: D86C1200 10000003
	v_mul_f32_dpp v46, v22, v18 row_newbcast:2 row_mask:0xf bank_mask:0xf// 000000006CA0: 0A5C24FA FF015216
	v_mov_b32_e32 v47, v46                                     // 000000006CA8: 7E5E032E
	v_pk_fma_f32 v[64:65], v[144:145], v[46:47], v[64:65]      // 000000006CAC: D3B04040 1D025D90
	v_pk_fma_f32 v[66:67], v[146:147], v[46:47], v[66:67]      // 000000006CB4: D3B04042 1D0A5D92
	v_pk_fma_f32 v[68:69], v[148:149], v[46:47], v[68:69]      // 000000006CBC: D3B04044 1D125D94
	v_pk_fma_f32 v[70:71], v[150:151], v[46:47], v[70:71]      // 000000006CC4: D3B04046 1D1A5D96
	v_mul_f32_dpp v46, v22, v18 row_newbcast:3 row_mask:0xf bank_mask:0xf// 000000006CCC: 0A5C24FA FF015316
	v_mov_b32_e32 v47, v46                                     // 000000006CD4: 7E5E032E
	v_pk_fma_f32 v[72:73], v[152:153], v[46:47], v[72:73]      // 000000006CD8: D3B04048 1D225D98
	v_pk_fma_f32 v[74:75], v[154:155], v[46:47], v[74:75]      // 000000006CE0: D3B0404A 1D2A5D9A
	v_pk_fma_f32 v[76:77], v[156:157], v[46:47], v[76:77]      // 000000006CE8: D3B0404C 1D325D9C
	v_pk_fma_f32 v[78:79], v[158:159], v[46:47], v[78:79]      // 000000006CF0: D3B0404E 1D3A5D9E
	s_add_u32 s60, 0x200, s80                                  // 000000006CF8: 803C50FF 00000200
	s_cmp_lt_u32 s60, s81                                      // 000000006D00: BF0A513C
	s_cselect_b32 s57, s57, 0                                  // 000000006D04: 85398039
	s_add_u32 s60, 0x200, s80                                  // 000000006D08: 803C50FF 00000200
	s_cmp_lt_u32 s60, s81                                      // 000000006D10: BF0A513C
	s_cselect_b32 s58, s58, 0                                  // 000000006D14: 853A803A
	s_cselect_b32 s90, s90, 0                                  // 000000006D18: 855A805A
	s_add_u32 s20, s57, s20                                    // 000000006D1C: 80141439
	s_addc_u32 s21, 0, s21                                     // 000000006D20: 82151580
	s_add_u32 s24, s58, s24                                    // 000000006D24: 8018183A
	s_addc_u32 s25, 0, s25                                     // 000000006D28: 82191980
	s_add_u32 s92, s90, s92                                    // 000000006D2C: 805C5C5A
	s_addc_u32 s93, 0, s93                                     // 000000006D30: 825D5D80
	s_addk_i32 s80, 0x100                                      // 000000006D34: B7500100
	s_cmp_lt_i32 s80, s81                                      // 000000006D38: BF045150
	s_cbranch_scc0 label_0FD1                                  // 000000006D3C: BF840001
	s_branch label_0CF0                                        // 000000006D40: BF82FD1F

0000000000006d44 <label_0FD1>:
	s_mov_b32 s20, 0                                           // 000000006D44: BE940080
	s_cmp_lt_u32 s89, s66                                      // 000000006D48: BF0A4259
	s_cselect_b32 s60, 0, 1                                    // 000000006D4C: 853C8180
	s_lshl1_add_u32 s20, s20, s60                              // 000000006D50: 97143C14
	s_cmp_lt_u32 s88, s66                                      // 000000006D54: BF0A4258
	s_cselect_b32 s60, 0, 1                                    // 000000006D58: 853C8180
	s_lshl1_add_u32 s20, s20, s60                              // 000000006D5C: 97143C14
	s_cmp_lt_u32 s87, s66                                      // 000000006D60: BF0A4257
	s_cselect_b32 s60, 0, 1                                    // 000000006D64: 853C8180
	s_lshl1_add_u32 s20, s20, s60                              // 000000006D68: 97143C14
	s_cmp_lt_u32 s86, s66                                      // 000000006D6C: BF0A4256
	s_cselect_b32 s60, 0, 1                                    // 000000006D70: 853C8180
	s_lshl1_add_u32 s20, s20, s60                              // 000000006D74: 97143C14
	s_cmp_lt_u32 s85, s66                                      // 000000006D78: BF0A4255
	s_cselect_b32 s60, 0, 1                                    // 000000006D7C: 853C8180
	s_lshl1_add_u32 s20, s20, s60                              // 000000006D80: 97143C14
	s_cmp_lt_u32 s84, s66                                      // 000000006D84: BF0A4254
	s_cselect_b32 s60, 0, 1                                    // 000000006D88: 853C8180
	s_lshl1_add_u32 s20, s20, s60                              // 000000006D8C: 97143C14
	s_cmp_lt_u32 s83, s66                                      // 000000006D90: BF0A4253
	s_cselect_b32 s60, 0, 1                                    // 000000006D94: 853C8180
	s_lshl1_add_u32 s20, s20, s60                              // 000000006D98: 97143C14
	s_cmp_lt_u32 s82, s66                                      // 000000006D9C: BF0A4252
	s_cselect_b32 s60, 0, 1                                    // 000000006DA0: 853C8180
	s_lshl1_add_u32 s20, s20, s60                              // 000000006DA4: 97143C14
	s_waitcnt vmcnt(12)                                        // 000000006DA8: BF8C0F7C
	buffer_load_dword v19, v6, s[16:19], 0 offen               // 000000006DAC: E0501000 80041306
	s_add_u32 s16, s79, s16                                    // 000000006DB4: 8010104F
	s_addc_u32 s17, 0, s17                                     // 000000006DB8: 82111180
	buffer_load_dwordx4 a[0:3], v37, s[12:15], 0 offen         // 000000006DBC: E05C1000 80830025
	buffer_load_dwordx4 a[4:7], v37, s[12:15], 0 offen offset:1024// 000000006DC4: E05C1400 80830425
	buffer_load_dwordx4 a[8:11], v38, s[12:15], 0 offen        // 000000006DCC: E05C1000 80830826
	buffer_load_dwordx4 a[12:15], v38, s[12:15], 0 offen offset:1024// 000000006DD4: E05C1400 80830C26
	v_mul_f32_e32 v46, v128, v128                              // 000000006DDC: 0A5D0180
	v_mul_f32_e32 v47, v129, v129                              // 000000006DE0: 0A5F0381
	v_mul_f32_e32 v48, v130, v130                              // 000000006DE4: 0A610582
	v_mul_f32_e32 v49, v131, v131                              // 000000006DE8: 0A630783
	v_fma_f32 v46, v46, s77, v1                                // 000000006DEC: D1CB002E 04049B2E
	v_fma_f32 v47, v47, s77, v1                                // 000000006DF4: D1CB002F 04049B2F
	v_fma_f32 v48, v48, s77, v1                                // 000000006DFC: D1CB0030 04049B30
	v_fma_f32 v49, v49, s77, v1                                // 000000006E04: D1CB0031 04049B31
	v_mul_f32_e32 v46, v46, v128                               // 000000006E0C: 0A5D012E
	v_mul_f32_e32 v47, v47, v129                               // 000000006E10: 0A5F032F
	v_mul_f32_e32 v48, v48, v130                               // 000000006E14: 0A610530
	v_mul_f32_e32 v49, v49, v131                               // 000000006E18: 0A630731
	v_mul_f32_e64 v46, v46, s6                                 // 000000006E1C: D105002E 00000D2E
	v_mul_f32_e64 v47, v47, s6                                 // 000000006E24: D105002F 00000D2F
	v_mul_f32_e64 v48, v48, s6                                 // 000000006E2C: D1050030 00000D30
	v_mul_f32_e64 v49, v49, s6                                 // 000000006E34: D1050031 00000D31
	v_exp_f32_e32 v46, v46                                     // 000000006E3C: 7E5C412E
	v_exp_f32_e32 v47, v47                                     // 000000006E40: 7E5E412F
	v_exp_f32_e32 v48, v48                                     // 000000006E44: 7E604130
	v_exp_f32_e32 v49, v49                                     // 000000006E48: 7E624131
	buffer_load_dwordx4 a[16:19], v39, s[12:15], 0 offen       // 000000006E4C: E05C1000 80831027
	buffer_load_dwordx4 a[20:23], v39, s[12:15], 0 offen offset:1024// 000000006E54: E05C1400 80831427
	buffer_load_dwordx4 a[24:27], v40, s[12:15], 0 offen       // 000000006E5C: E05C1000 80831828
	buffer_load_dwordx4 a[28:31], v40, s[12:15], 0 offen offset:1024// 000000006E64: E05C1400 80831C28
	s_add_u32 s12, s78, s12                                    // 000000006E6C: 800C0C4E
	s_addc_u32 s13, 0, s13                                     // 000000006E70: 820D0D80
	v_add_f32_e64 v46, v46, 1.0                                // 000000006E74: D101002E 0001E52E
	v_add_f32_e64 v47, v47, 1.0                                // 000000006E7C: D101002F 0001E52F
	v_add_f32_e64 v48, v48, 1.0                                // 000000006E84: D1010030 0001E530
	v_add_f32_e64 v49, v49, 1.0                                // 000000006E8C: D1010031 0001E531
	v_rcp_f32_e32 v46, v46                                     // 000000006E94: 7E5C452E
	v_rcp_f32_e32 v47, v47                                     // 000000006E98: 7E5E452F
	v_rcp_f32_e32 v48, v48                                     // 000000006E9C: 7E604530
	v_rcp_f32_e32 v49, v49                                     // 000000006EA0: 7E624531
	v_mul_f32_e32 v128, v128, v46                              // 000000006EA4: 0B005D80
	v_mul_f32_e32 v129, v129, v47                              // 000000006EA8: 0B025F81
	v_mul_f32_e32 v130, v130, v48                              // 000000006EAC: 0B046182
	v_mul_f32_e32 v131, v131, v49                              // 000000006EB0: 0B066383
	v_mul_f32_e32 v128, v128, v64                              // 000000006EB4: 0B008180
	v_mul_f32_e32 v129, v129, v65                              // 000000006EB8: 0B028381
	v_mul_f32_e32 v130, v130, v66                              // 000000006EBC: 0B048582
	v_mul_f32_e32 v131, v131, v67                              // 000000006EC0: 0B068783
	s_waitcnt vmcnt(12)                                        // 000000006EC4: BF8C0F7C
	buffer_load_dwordx4 a[32:35], v37, s[12:15], 0 offen       // 000000006EC8: E05C1000 80832025
	buffer_load_dwordx4 a[36:39], v37, s[12:15], 0 offen offset:1024// 000000006ED0: E05C1400 80832425
	buffer_load_dwordx4 a[40:43], v38, s[12:15], 0 offen       // 000000006ED8: E05C1000 80832826
	buffer_load_dwordx4 a[44:47], v38, s[12:15], 0 offen offset:1024// 000000006EE0: E05C1400 80832C26
	v_mul_f32_e32 v46, v132, v132                              // 000000006EE8: 0A5D0984
	v_mul_f32_e32 v47, v133, v133                              // 000000006EEC: 0A5F0B85
	v_mul_f32_e32 v48, v134, v134                              // 000000006EF0: 0A610D86
	v_mul_f32_e32 v49, v135, v135                              // 000000006EF4: 0A630F87
	v_fma_f32 v46, v46, s77, v1                                // 000000006EF8: D1CB002E 04049B2E
	v_fma_f32 v47, v47, s77, v1                                // 000000006F00: D1CB002F 04049B2F
	v_fma_f32 v48, v48, s77, v1                                // 000000006F08: D1CB0030 04049B30
	v_fma_f32 v49, v49, s77, v1                                // 000000006F10: D1CB0031 04049B31
	v_mul_f32_e32 v46, v46, v132                               // 000000006F18: 0A5D092E
	v_mul_f32_e32 v47, v47, v133                               // 000000006F1C: 0A5F0B2F
	v_mul_f32_e32 v48, v48, v134                               // 000000006F20: 0A610D30
	v_mul_f32_e32 v49, v49, v135                               // 000000006F24: 0A630F31
	v_mul_f32_e64 v46, v46, s6                                 // 000000006F28: D105002E 00000D2E
	v_mul_f32_e64 v47, v47, s6                                 // 000000006F30: D105002F 00000D2F
	v_mul_f32_e64 v48, v48, s6                                 // 000000006F38: D1050030 00000D30
	v_mul_f32_e64 v49, v49, s6                                 // 000000006F40: D1050031 00000D31
	v_exp_f32_e32 v46, v46                                     // 000000006F48: 7E5C412E
	v_exp_f32_e32 v47, v47                                     // 000000006F4C: 7E5E412F
	v_exp_f32_e32 v48, v48                                     // 000000006F50: 7E604130
	v_exp_f32_e32 v49, v49                                     // 000000006F54: 7E624131
	buffer_load_dwordx4 a[48:51], v39, s[12:15], 0 offen       // 000000006F58: E05C1000 80833027
	buffer_load_dwordx4 a[52:55], v39, s[12:15], 0 offen offset:1024// 000000006F60: E05C1400 80833427
	buffer_load_dwordx4 a[56:59], v40, s[12:15], 0 offen       // 000000006F68: E05C1000 80833828
	buffer_load_dwordx4 a[60:63], v40, s[12:15], 0 offen offset:1024// 000000006F70: E05C1400 80833C28
	s_add_u32 s12, s56, s12                                    // 000000006F78: 800C0C38
	s_addc_u32 s13, 0, s13                                     // 000000006F7C: 820D0D80
	v_add_f32_e64 v46, v46, 1.0                                // 000000006F80: D101002E 0001E52E
	v_add_f32_e64 v47, v47, 1.0                                // 000000006F88: D101002F 0001E52F
	v_add_f32_e64 v48, v48, 1.0                                // 000000006F90: D1010030 0001E530
	v_add_f32_e64 v49, v49, 1.0                                // 000000006F98: D1010031 0001E531
	v_rcp_f32_e32 v46, v46                                     // 000000006FA0: 7E5C452E
	v_rcp_f32_e32 v47, v47                                     // 000000006FA4: 7E5E452F
	v_rcp_f32_e32 v48, v48                                     // 000000006FA8: 7E604530
	v_rcp_f32_e32 v49, v49                                     // 000000006FAC: 7E624531
	v_mul_f32_e32 v132, v132, v46                              // 000000006FB0: 0B085D84
	v_mul_f32_e32 v133, v133, v47                              // 000000006FB4: 0B0A5F85
	v_mul_f32_e32 v134, v134, v48                              // 000000006FB8: 0B0C6186
	v_mul_f32_e32 v135, v135, v49                              // 000000006FBC: 0B0E6387
	v_mul_f32_e32 v132, v132, v68                              // 000000006FC0: 0B088984
	v_mul_f32_e32 v133, v133, v69                              // 000000006FC4: 0B0A8B85
	v_mul_f32_e32 v134, v134, v70                              // 000000006FC8: 0B0C8D86
	v_mul_f32_e32 v135, v135, v71                              // 000000006FCC: 0B0E8F87
	s_waitcnt vmcnt(12)                                        // 000000006FD0: BF8C0F7C
	buffer_load_dword v20, v6, s[16:19], 0 offen               // 000000006FD4: E0501000 80041406
	s_add_u32 s16, s79, s16                                    // 000000006FDC: 8010104F
	s_addc_u32 s17, 0, s17                                     // 000000006FE0: 82111180
	buffer_load_dwordx4 a[64:67], v37, s[12:15], 0 offen       // 000000006FE4: E05C1000 80834025
	buffer_load_dwordx4 a[68:71], v37, s[12:15], 0 offen offset:1024// 000000006FEC: E05C1400 80834425
	buffer_load_dwordx4 a[72:75], v38, s[12:15], 0 offen       // 000000006FF4: E05C1000 80834826
	buffer_load_dwordx4 a[76:79], v38, s[12:15], 0 offen offset:1024// 000000006FFC: E05C1400 80834C26
	v_mul_f32_e32 v46, v136, v136                              // 000000007004: 0A5D1188
	v_mul_f32_e32 v47, v137, v137                              // 000000007008: 0A5F1389
	v_mul_f32_e32 v48, v138, v138                              // 00000000700C: 0A61158A
	v_mul_f32_e32 v49, v139, v139                              // 000000007010: 0A63178B
	v_fma_f32 v46, v46, s77, v1                                // 000000007014: D1CB002E 04049B2E
	v_fma_f32 v47, v47, s77, v1                                // 00000000701C: D1CB002F 04049B2F
	v_fma_f32 v48, v48, s77, v1                                // 000000007024: D1CB0030 04049B30
	v_fma_f32 v49, v49, s77, v1                                // 00000000702C: D1CB0031 04049B31
	v_mul_f32_e32 v46, v46, v136                               // 000000007034: 0A5D112E
	v_mul_f32_e32 v47, v47, v137                               // 000000007038: 0A5F132F
	v_mul_f32_e32 v48, v48, v138                               // 00000000703C: 0A611530
	v_mul_f32_e32 v49, v49, v139                               // 000000007040: 0A631731
	v_mul_f32_e64 v46, v46, s6                                 // 000000007044: D105002E 00000D2E
	v_mul_f32_e64 v47, v47, s6                                 // 00000000704C: D105002F 00000D2F
	v_mul_f32_e64 v48, v48, s6                                 // 000000007054: D1050030 00000D30
	v_mul_f32_e64 v49, v49, s6                                 // 00000000705C: D1050031 00000D31
	v_exp_f32_e32 v46, v46                                     // 000000007064: 7E5C412E
	v_exp_f32_e32 v47, v47                                     // 000000007068: 7E5E412F
	v_exp_f32_e32 v48, v48                                     // 00000000706C: 7E604130
	v_exp_f32_e32 v49, v49                                     // 000000007070: 7E624131
	buffer_load_dwordx4 a[80:83], v39, s[12:15], 0 offen       // 000000007074: E05C1000 80835027
	buffer_load_dwordx4 a[84:87], v39, s[12:15], 0 offen offset:1024// 00000000707C: E05C1400 80835427
	buffer_load_dwordx4 a[88:91], v40, s[12:15], 0 offen       // 000000007084: E05C1000 80835828
	buffer_load_dwordx4 a[92:95], v40, s[12:15], 0 offen offset:1024// 00000000708C: E05C1400 80835C28
	s_add_u32 s12, s78, s12                                    // 000000007094: 800C0C4E
	s_addc_u32 s13, 0, s13                                     // 000000007098: 820D0D80
	v_add_f32_e64 v46, v46, 1.0                                // 00000000709C: D101002E 0001E52E
	v_add_f32_e64 v47, v47, 1.0                                // 0000000070A4: D101002F 0001E52F
	v_add_f32_e64 v48, v48, 1.0                                // 0000000070AC: D1010030 0001E530
	v_add_f32_e64 v49, v49, 1.0                                // 0000000070B4: D1010031 0001E531
	v_rcp_f32_e32 v46, v46                                     // 0000000070BC: 7E5C452E
	v_rcp_f32_e32 v47, v47                                     // 0000000070C0: 7E5E452F
	v_rcp_f32_e32 v48, v48                                     // 0000000070C4: 7E604530
	v_rcp_f32_e32 v49, v49                                     // 0000000070C8: 7E624531
	v_mul_f32_e32 v136, v136, v46                              // 0000000070CC: 0B105D88
	v_mul_f32_e32 v137, v137, v47                              // 0000000070D0: 0B125F89
	v_mul_f32_e32 v138, v138, v48                              // 0000000070D4: 0B14618A
	v_mul_f32_e32 v139, v139, v49                              // 0000000070D8: 0B16638B
	v_mul_f32_e32 v136, v136, v72                              // 0000000070DC: 0B109188
	v_mul_f32_e32 v137, v137, v73                              // 0000000070E0: 0B129389
	v_mul_f32_e32 v138, v138, v74                              // 0000000070E4: 0B14958A
	v_mul_f32_e32 v139, v139, v75                              // 0000000070E8: 0B16978B
	s_waitcnt vmcnt(12)                                        // 0000000070EC: BF8C0F7C
	buffer_load_dwordx4 a[96:99], v37, s[12:15], 0 offen       // 0000000070F0: E05C1000 80836025
	buffer_load_dwordx4 a[100:103], v37, s[12:15], 0 offen offset:1024// 0000000070F8: E05C1400 80836425
	buffer_load_dwordx4 a[104:107], v38, s[12:15], 0 offen     // 000000007100: E05C1000 80836826
	buffer_load_dwordx4 a[108:111], v38, s[12:15], 0 offen offset:1024// 000000007108: E05C1400 80836C26
	v_mul_f32_e32 v46, v140, v140                              // 000000007110: 0A5D198C
	v_mul_f32_e32 v47, v141, v141                              // 000000007114: 0A5F1B8D
	v_mul_f32_e32 v48, v142, v142                              // 000000007118: 0A611D8E
	v_mul_f32_e32 v49, v143, v143                              // 00000000711C: 0A631F8F
	v_fma_f32 v46, v46, s77, v1                                // 000000007120: D1CB002E 04049B2E
	v_fma_f32 v47, v47, s77, v1                                // 000000007128: D1CB002F 04049B2F
	v_fma_f32 v48, v48, s77, v1                                // 000000007130: D1CB0030 04049B30
	v_fma_f32 v49, v49, s77, v1                                // 000000007138: D1CB0031 04049B31
	v_mul_f32_e32 v46, v46, v140                               // 000000007140: 0A5D192E
	v_mul_f32_e32 v47, v47, v141                               // 000000007144: 0A5F1B2F
	v_mul_f32_e32 v48, v48, v142                               // 000000007148: 0A611D30
	v_mul_f32_e32 v49, v49, v143                               // 00000000714C: 0A631F31
	v_mul_f32_e64 v46, v46, s6                                 // 000000007150: D105002E 00000D2E
	v_mul_f32_e64 v47, v47, s6                                 // 000000007158: D105002F 00000D2F
	v_mul_f32_e64 v48, v48, s6                                 // 000000007160: D1050030 00000D30
	v_mul_f32_e64 v49, v49, s6                                 // 000000007168: D1050031 00000D31
	v_exp_f32_e32 v46, v46                                     // 000000007170: 7E5C412E
	v_exp_f32_e32 v47, v47                                     // 000000007174: 7E5E412F
	v_exp_f32_e32 v48, v48                                     // 000000007178: 7E604130
	v_exp_f32_e32 v49, v49                                     // 00000000717C: 7E624131
	buffer_load_dwordx4 a[112:115], v39, s[12:15], 0 offen     // 000000007180: E05C1000 80837027
	buffer_load_dwordx4 a[116:119], v39, s[12:15], 0 offen offset:1024// 000000007188: E05C1400 80837427
	buffer_load_dwordx4 a[120:123], v40, s[12:15], 0 offen     // 000000007190: E05C1000 80837828
	buffer_load_dwordx4 a[124:127], v40, s[12:15], 0 offen offset:1024// 000000007198: E05C1400 80837C28
	s_add_u32 s12, s56, s12                                    // 0000000071A0: 800C0C38
	s_addc_u32 s13, 0, s13                                     // 0000000071A4: 820D0D80
	v_add_f32_e64 v46, v46, 1.0                                // 0000000071A8: D101002E 0001E52E
	v_add_f32_e64 v47, v47, 1.0                                // 0000000071B0: D101002F 0001E52F
	v_add_f32_e64 v48, v48, 1.0                                // 0000000071B8: D1010030 0001E530
	v_add_f32_e64 v49, v49, 1.0                                // 0000000071C0: D1010031 0001E531
	v_rcp_f32_e32 v46, v46                                     // 0000000071C8: 7E5C452E
	v_rcp_f32_e32 v47, v47                                     // 0000000071CC: 7E5E452F
	v_rcp_f32_e32 v48, v48                                     // 0000000071D0: 7E604530
	v_rcp_f32_e32 v49, v49                                     // 0000000071D4: 7E624531
	v_mul_f32_e32 v140, v140, v46                              // 0000000071D8: 0B185D8C
	v_mul_f32_e32 v141, v141, v47                              // 0000000071DC: 0B1A5F8D
	v_mul_f32_e32 v142, v142, v48                              // 0000000071E0: 0B1C618E
	v_mul_f32_e32 v143, v143, v49                              // 0000000071E4: 0B1E638F
	v_mul_f32_e32 v140, v140, v76                              // 0000000071E8: 0B18998C
	v_mul_f32_e32 v141, v141, v77                              // 0000000071EC: 0B1A9B8D
	v_mul_f32_e32 v142, v142, v78                              // 0000000071F0: 0B1C9D8E
	v_mul_f32_e32 v143, v143, v79                              // 0000000071F4: 0B1E9F8F
	v_lshlrev_b32_e32 v46, 2, v0                               // 0000000071F8: 245C0082
	s_mul_i32 s60, s82, s71                                    // 0000000071FC: 923C4752
	v_add_u32_e64 v80, v46, s60                                // 000000007200: D1340050 0000792E
	v_mov_b32_e32 v81, 0                                       // 000000007208: 7EA20280
	s_mul_i32 s60, s83, s71                                    // 00000000720C: 923C4753
	v_add_u32_e64 v82, v46, s60                                // 000000007210: D1340052 0000792E
	v_mov_b32_e32 v83, 0                                       // 000000007218: 7EA60280
	s_mul_i32 s60, s84, s71                                    // 00000000721C: 923C4754
	v_add_u32_e64 v84, v46, s60                                // 000000007220: D1340054 0000792E
	v_mov_b32_e32 v85, 0                                       // 000000007228: 7EAA0280
	s_mul_i32 s60, s85, s71                                    // 00000000722C: 923C4755
	v_add_u32_e64 v86, v46, s60                                // 000000007230: D1340056 0000792E
	v_mov_b32_e32 v87, 0                                       // 000000007238: 7EAE0280
	v_mov_b32_e32 v26, 0x358637bd                              // 00000000723C: 7E3402FF 358637BD
	v_max3_f32 v26, |v128|, |v129|, v26                        // 000000007244: D1D3031A 046B0380
	v_max3_f32 v26, |v130|, |v131|, v26                        // 00000000724C: D1D3031A 046B0782
	v_max3_f32 v26, |v132|, |v133|, v26                        // 000000007254: D1D3031A 046B0B84
	v_max3_f32 v26, |v134|, |v135|, v26                        // 00000000725C: D1D3031A 046B0F86
	v_mov_b32_e32 v46, v26                                     // 000000007264: 7E5C031A
	s_nop 1                                                    // 000000007268: BF800001
	v_permlane32_swap_b32_e32 v46, v26                         // 00000000726C: 7E5CB51A
	v_max_f32_e32 v26, v46, v26                                // 000000007270: 1634352E
	v_mov_b32_e32 v46, v26                                     // 000000007274: 7E5C031A
	s_nop 1                                                    // 000000007278: BF800001
	v_permlane16_swap_b32_e32 v46, v26                         // 00000000727C: 7E5CB31A
	v_max_f32_e32 v26, v46, v26                                // 000000007280: 1634352E
	v_lshlrev_b32_e32 v46, 2, v0                               // 000000007284: 245C0082
	s_mul_i32 s60, 64, s7                                      // 000000007288: 923C07C0
	v_add_u32_e32 v46, s60, v46                                // 00000000728C: 685C5C3C
	s_mov_b32 s60, 0xffff                                      // 000000007290: BEBC00FF 0000FFFF
	s_mov_b32 s61, 0                                           // 000000007298: BEBD0080
	s_mov_b64 exec, s[60:61]                                   // 00000000729C: BEFE013C
	ds_write_b32 v46, v26 offset:10752                         // 0000000072A0: D81A2A00 00001A2E
	s_mov_b32 s60, -1                                          // 0000000072A8: BEBC00C1
	s_mov_b32 s61, -1                                          // 0000000072AC: BEBD00C1
	s_mov_b64 exec, s[60:61]                                   // 0000000072B0: BEFE013C
	s_waitcnt lgkmcnt(0)                                       // 0000000072B4: BF8CC07F
	s_barrier                                                  // 0000000072B8: BF8A0000
	v_lshlrev_b32_e32 v46, 2, v0                               // 0000000072BC: 245C0082
	ds_read_b32 v144, v46 offset:10752                         // 0000000072C0: D86C2A00 9000002E
	s_waitcnt lgkmcnt(0)                                       // 0000000072C8: BF8CC07F
	v_mov_b32_e32 v46, v144                                    // 0000000072CC: 7E5C0390
	s_nop 1                                                    // 0000000072D0: BF800001
	v_permlane32_swap_b32_e32 v46, v144                        // 0000000072D4: 7E5CB590
	v_max_f32_e32 v144, v46, v144                              // 0000000072D8: 1721212E
	v_mov_b32_e32 v46, v144                                    // 0000000072DC: 7E5C0390
	s_nop 1                                                    // 0000000072E0: BF800001
	v_permlane16_swap_b32_e32 v46, v144                        // 0000000072E4: 7E5CB390
	v_max_f32_e32 v144, v46, v144                              // 0000000072E8: 1721212E
	v_max_f32_e32 v26, v144, v26                               // 0000000072EC: 16343590
	v_rcp_f32_e32 v26, v26                                     // 0000000072F0: 7E34451A
	v_mov_b32_e32 v46, 0x43e00000                              // 0000000072F4: 7E5C02FF 43E00000
	v_mul_f32_e32 v26, v46, v26                                // 0000000072FC: 0A34352E
	v_mul_f32_e32 v128, v26, v128                              // 000000007300: 0B01011A
	v_mul_f32_e32 v129, v26, v129                              // 000000007304: 0B03031A
	v_mul_f32_e32 v130, v26, v130                              // 000000007308: 0B05051A
	v_mul_f32_e32 v131, v26, v131                              // 00000000730C: 0B07071A
	v_cvt_pk_fp8_f32 v128, v128, v129                          // 000000007310: D2A20080 00030380
	v_cvt_pk_fp8_f32 v128, v130, v131 op_sel:[0,0,1]           // 000000007318: D2A24080 00030782
	v_mul_f32_e32 v132, v26, v132                              // 000000007320: 0B09091A
	v_mul_f32_e32 v133, v26, v133                              // 000000007324: 0B0B0B1A
	v_mul_f32_e32 v134, v26, v134                              // 000000007328: 0B0D0D1A
	v_mul_f32_e32 v135, v26, v135                              // 00000000732C: 0B0F0F1A
	v_cvt_pk_fp8_f32 v129, v132, v133                          // 000000007330: D2A20081 00030B84
	v_cvt_pk_fp8_f32 v129, v134, v135 op_sel:[0,0,1]           // 000000007338: D2A24081 00030F86
	v_rcp_f32_e32 v28, v26                                     // 000000007340: 7E38451A
	v_nop                                                      // 000000007344: 7E000000
	v_mov_b32_e32 v26, 0x358637bd                              // 000000007348: 7E3402FF 358637BD
	v_max3_f32 v26, |v136|, |v137|, v26                        // 000000007350: D1D3031A 046B1388
	v_max3_f32 v26, |v138|, |v139|, v26                        // 000000007358: D1D3031A 046B178A
	v_max3_f32 v26, |v140|, |v141|, v26                        // 000000007360: D1D3031A 046B1B8C
	v_max3_f32 v26, |v142|, |v143|, v26                        // 000000007368: D1D3031A 046B1F8E
	v_mov_b32_e32 v46, v26                                     // 000000007370: 7E5C031A
	s_nop 1                                                    // 000000007374: BF800001
	v_permlane32_swap_b32_e32 v46, v26                         // 000000007378: 7E5CB51A
	v_max_f32_e32 v26, v46, v26                                // 00000000737C: 1634352E
	v_mov_b32_e32 v46, v26                                     // 000000007380: 7E5C031A
	s_nop 1                                                    // 000000007384: BF800001
	v_permlane16_swap_b32_e32 v46, v26                         // 000000007388: 7E5CB31A
	v_max_f32_e32 v26, v46, v26                                // 00000000738C: 1634352E
	v_lshlrev_b32_e32 v46, 2, v0                               // 000000007390: 245C0082
	s_mul_i32 s60, 64, s7                                      // 000000007394: 923C07C0
	v_add_u32_e32 v46, s60, v46                                // 000000007398: 685C5C3C
	s_mov_b32 s60, 0xffff                                      // 00000000739C: BEBC00FF 0000FFFF
	s_mov_b32 s61, 0                                           // 0000000073A4: BEBD0080
	s_mov_b64 exec, s[60:61]                                   // 0000000073A8: BEFE013C
	ds_write_b32 v46, v26 offset:10752                         // 0000000073AC: D81A2A00 00001A2E
	s_mov_b32 s60, -1                                          // 0000000073B4: BEBC00C1
	s_mov_b32 s61, -1                                          // 0000000073B8: BEBD00C1
	s_mov_b64 exec, s[60:61]                                   // 0000000073BC: BEFE013C
	s_waitcnt lgkmcnt(0)                                       // 0000000073C0: BF8CC07F
	s_barrier                                                  // 0000000073C4: BF8A0000
	v_lshlrev_b32_e32 v46, 2, v0                               // 0000000073C8: 245C0082
	ds_read_b32 v144, v46 offset:10752                         // 0000000073CC: D86C2A00 9000002E
	s_waitcnt lgkmcnt(0)                                       // 0000000073D4: BF8CC07F
	v_mov_b32_e32 v46, v144                                    // 0000000073D8: 7E5C0390
	s_nop 1                                                    // 0000000073DC: BF800001
	v_permlane32_swap_b32_e32 v46, v144                        // 0000000073E0: 7E5CB590
	v_max_f32_e32 v144, v46, v144                              // 0000000073E4: 1721212E
	v_mov_b32_e32 v46, v144                                    // 0000000073E8: 7E5C0390
	s_nop 1                                                    // 0000000073EC: BF800001
	v_permlane16_swap_b32_e32 v46, v144                        // 0000000073F0: 7E5CB390
	v_max_f32_e32 v144, v46, v144                              // 0000000073F4: 1721212E
	v_max_f32_e32 v26, v144, v26                               // 0000000073F8: 16343590
	v_rcp_f32_e32 v26, v26                                     // 0000000073FC: 7E34451A
	v_mov_b32_e32 v46, 0x43e00000                              // 000000007400: 7E5C02FF 43E00000
	v_mul_f32_e32 v26, v46, v26                                // 000000007408: 0A34352E
	v_mul_f32_e32 v136, v26, v136                              // 00000000740C: 0B11111A
	v_mul_f32_e32 v137, v26, v137                              // 000000007410: 0B13131A
	v_mul_f32_e32 v138, v26, v138                              // 000000007414: 0B15151A
	v_mul_f32_e32 v139, v26, v139                              // 000000007418: 0B17171A
	v_cvt_pk_fp8_f32 v130, v136, v137                          // 00000000741C: D2A20082 00031388
	v_cvt_pk_fp8_f32 v130, v138, v139 op_sel:[0,0,1]           // 000000007424: D2A24082 0003178A
	v_mul_f32_e32 v140, v26, v140                              // 00000000742C: 0B19191A
	v_mul_f32_e32 v141, v26, v141                              // 000000007430: 0B1B1B1A
	v_mul_f32_e32 v142, v26, v142                              // 000000007434: 0B1D1D1A
	v_mul_f32_e32 v143, v26, v143                              // 000000007438: 0B1F1F1A
	v_cvt_pk_fp8_f32 v131, v140, v141                          // 00000000743C: D2A20083 00031B8C
	v_cvt_pk_fp8_f32 v131, v142, v143 op_sel:[0,0,1]           // 000000007444: D2A24083 00031F8E
	v_rcp_f32_e32 v29, v26                                     // 00000000744C: 7E3A451A
	v_nop                                                      // 000000007450: 7E000000
	v_lshrrev_b32_e32 v46, 5, v0                               // 000000007454: 205C0085
	v_lshlrev_b32_e32 v47, 6, v46                              // 000000007458: 245E5C86
	v_and_b32_e32 v46, 31, v0                                  // 00000000745C: 265C009F
	v_lshrrev_b32_e32 v48, 4, v46                              // 000000007460: 20605C84
	v_add_u32_e32 v47, v48, v47                                // 000000007464: 685E5F30
	v_and_b32_e32 v46, 15, v0                                  // 000000007468: 265C008F
	v_lshlrev_b32_e32 v46, 1, v46                              // 00000000746C: 245C5C81
	v_add_u32_e32 v47, v46, v47                                // 000000007470: 685E5F2E
	v_lshlrev_b32_e32 v46, 2, v47                              // 000000007474: 245C5E82
	s_mov_b32 s60, 0                                           // 000000007478: BEBC0080
	s_lshr_b32 s61, s7, 1                                      // 00000000747C: 8F3D8107
	s_mul_i32 s61, s61, 0x200                                  // 000000007480: 923DFF3D 00000200
	s_add_u32 s60, s61, s60                                    // 000000007488: 803C3C3D
	s_and_b32 s61, s7, 1                                       // 00000000748C: 863D8107
	s_mul_i32 s61, s61, 0x80                                   // 000000007490: 923DFF3D 00000080
	s_add_u32 s60, s61, s60                                    // 000000007498: 803C3C3D
	v_add_u32_e64 v46, v46, s60                                // 00000000749C: D134002E 0000792E
	ds_write_b32 v46, v128 offset:11776                        // 0000000074A4: D81A2E00 0000802E
	ds_write_b32 v46, v129 offset:12800                        // 0000000074AC: D81A3200 0000812E
	ds_write_b32 v46, v130 offset:13824                        // 0000000074B4: D81A3600 0000822E
	ds_write_b32 v46, v131 offset:14848                        // 0000000074BC: D81A3A00 0000832E
	s_waitcnt lgkmcnt(0)                                       // 0000000074C4: BF8CC07F
	s_barrier                                                  // 0000000074C8: BF8A0000
	v_and_b32_e32 v46, 31, v0                                  // 0000000074CC: 265C009F
	v_lshrrev_b32_e32 v46, 4, v46                              // 0000000074D0: 205C5C84
	v_lshlrev_b32_e32 v47, 5, v46                              // 0000000074D4: 245E5C85
	v_lshrrev_b32_e32 v46, 5, v0                               // 0000000074D8: 205C0085
	v_lshlrev_b32_e32 v46, 7, v46                              // 0000000074DC: 245C5C87
	v_add_u32_e32 v47, v46, v47                                // 0000000074E0: 685E5F2E
	v_and_b32_e32 v46, 15, v0                                  // 0000000074E4: 265C008F
	v_lshlrev_b32_e32 v46, 1, v46                              // 0000000074E8: 245C5C81
	v_add_u32_e32 v47, v46, v47                                // 0000000074EC: 685E5F2E
	v_lshlrev_b32_e32 v46, 2, v47                              // 0000000074F0: 245C5E82
	ds_read_b64 v[128:129], v46 offset:11776                   // 0000000074F4: D8EC2E00 8000002E
	ds_read_b64 v[130:131], v46 offset:12032                   // 0000000074FC: D8EC2F00 8200002E
	ds_read_b64 v[132:133], v46 offset:12800                   // 000000007504: D8EC3200 8400002E
	ds_read_b64 v[134:135], v46 offset:13056                   // 00000000750C: D8EC3300 8600002E
	ds_read_b64 v[136:137], v46 offset:13824                   // 000000007514: D8EC3600 8800002E
	ds_read_b64 v[138:139], v46 offset:14080                   // 00000000751C: D8EC3700 8A00002E
	ds_read_b64 v[140:141], v46 offset:14848                   // 000000007524: D8EC3A00 8C00002E
	ds_read_b64 v[142:143], v46 offset:15104                   // 00000000752C: D8EC3B00 8E00002E
	s_waitcnt lgkmcnt(0)                                       // 000000007534: BF8CC07F
	s_barrier                                                  // 000000007538: BF8A0000
	v_mov_b32_e32 v160, 0                                      // 00000000753C: 7F400280
	v_mov_b32_e32 v176, 0                                      // 000000007540: 7F600280
	v_mov_b32_e32 v161, 0                                      // 000000007544: 7F420280
	v_mov_b32_e32 v177, 0                                      // 000000007548: 7F620280
	v_mov_b32_e32 v162, 0                                      // 00000000754C: 7F440280
	v_mov_b32_e32 v178, 0                                      // 000000007550: 7F640280
	v_mov_b32_e32 v163, 0                                      // 000000007554: 7F460280
	v_mov_b32_e32 v179, 0                                      // 000000007558: 7F660280
	v_mov_b32_e32 v164, 0                                      // 00000000755C: 7F480280
	v_mov_b32_e32 v180, 0                                      // 000000007560: 7F680280
	v_mov_b32_e32 v165, 0                                      // 000000007564: 7F4A0280
	v_mov_b32_e32 v181, 0                                      // 000000007568: 7F6A0280
	v_mov_b32_e32 v166, 0                                      // 00000000756C: 7F4C0280
	v_mov_b32_e32 v182, 0                                      // 000000007570: 7F6C0280
	v_mov_b32_e32 v167, 0                                      // 000000007574: 7F4E0280
	v_mov_b32_e32 v183, 0                                      // 000000007578: 7F6E0280
	v_mov_b32_e32 v168, 0                                      // 00000000757C: 7F500280
	v_mov_b32_e32 v184, 0                                      // 000000007580: 7F700280
	v_mov_b32_e32 v169, 0                                      // 000000007584: 7F520280
	v_mov_b32_e32 v185, 0                                      // 000000007588: 7F720280
	v_mov_b32_e32 v170, 0                                      // 00000000758C: 7F540280
	v_mov_b32_e32 v186, 0                                      // 000000007590: 7F740280
	v_mov_b32_e32 v171, 0                                      // 000000007594: 7F560280
	v_mov_b32_e32 v187, 0                                      // 000000007598: 7F760280
	v_mov_b32_e32 v172, 0                                      // 00000000759C: 7F580280
	v_mov_b32_e32 v188, 0                                      // 0000000075A0: 7F780280
	v_mov_b32_e32 v173, 0                                      // 0000000075A4: 7F5A0280
	v_mov_b32_e32 v189, 0                                      // 0000000075A8: 7F7A0280
	v_mov_b32_e32 v174, 0                                      // 0000000075AC: 7F5C0280
	v_mov_b32_e32 v190, 0                                      // 0000000075B0: 7F7C0280
	v_mov_b32_e32 v175, 0                                      // 0000000075B4: 7F5E0280
	v_mov_b32_e32 v191, 0                                      // 0000000075B8: 7F7E0280
	ds_write_b64 v4, v[160:161] offset:11776                   // 0000000075BC: D89A2E00 0000A004
	ds_write_b64 v4, v[162:163] offset:13952                   // 0000000075C4: D89A3680 0000A204
	ds_write_b64 v4, v[164:165] offset:16128                   // 0000000075CC: D89A3F00 0000A404
	ds_write_b64 v4, v[166:167] offset:18304                   // 0000000075D4: D89A4780 0000A604
	s_mov_b32 s80, 0                                           // 0000000075DC: BED00080

00000000000075e0 <label_11F8>:
	s_waitcnt vmcnt(29) lgkmcnt(0)                             // 0000000075E0: BF8C407D
	s_barrier                                                  // 0000000075E4: BF8A0000
	v_mfma_f32_16x16x128_f8f6f4 v[160:163], a[0:7], v[128:135], 0// 0000000075E8: D3AD00A0 0A030100
	buffer_load_dword v21, v6, s[16:19], 0 offen               // 0000000075F0: E0501000 80041506
	buffer_load_dwordx4 a[128:131], v37, s[12:15], 0 offen     // 0000000075F8: E05C1000 80838025
	buffer_load_dwordx4 a[132:135], v37, s[12:15], 0 offen offset:1024// 000000007600: E05C1400 80838425
	buffer_load_dwordx4 a[136:139], v38, s[12:15], 0 offen     // 000000007608: E05C1000 80838826
	buffer_load_dwordx4 a[140:143], v38, s[12:15], 0 offen offset:1024// 000000007610: E05C1400 80838C26
	v_mfma_f32_16x16x128_f8f6f4 v[164:167], a[8:15], v[128:135], 0// 000000007618: D3AD00A4 0A030108
	ds_read_b32 v64, v5 offset:11776                           // 000000007620: D86C2E00 40000005
	ds_read_b32 v65, v5 offset:16128                           // 000000007628: D86C3F00 41000005
	ds_read_b32 v66, v5 offset:11784                           // 000000007630: D86C2E08 42000005
	ds_read_b32 v67, v5 offset:16136                           // 000000007638: D86C3F08 43000005
	ds_read_b32 v68, v5 offset:11808                           // 000000007640: D86C2E20 44000005
	ds_read_b32 v69, v5 offset:16160                           // 000000007648: D86C3F20 45000005
	ds_read_b32 v70, v5 offset:11816                           // 000000007650: D86C2E28 46000005
	ds_read_b32 v71, v5 offset:16168                           // 000000007658: D86C3F28 47000005
	s_waitcnt vmcnt(29)                                        // 000000007660: BF8C4F7D
	v_mfma_f32_16x16x128_f8f6f4 v[168:171], a[16:23], v[128:135], 0// 000000007664: D3AD00A8 0A030110
	buffer_load_dwordx4 a[144:147], v39, s[12:15], 0 offen     // 00000000766C: E05C1000 80839027
	buffer_load_dwordx4 a[148:151], v39, s[12:15], 0 offen offset:1024// 000000007674: E05C1400 80839427
	buffer_load_dwordx4 a[152:155], v40, s[12:15], 0 offen     // 00000000767C: E05C1000 80839828
	buffer_load_dwordx4 a[156:159], v40, s[12:15], 0 offen offset:1024// 000000007684: E05C1400 80839C28
	s_add_u32 s12, s78, s12                                    // 00000000768C: 800C0C4E
	s_addc_u32 s13, 0, s13                                     // 000000007690: 820D0D80
	v_mfma_f32_16x16x128_f8f6f4 v[172:175], a[24:31], v[128:135], 0// 000000007694: D3AD00AC 0A030118
	v_mul_f32_dpp v46, v19, v28 row_newbcast:0 row_mask:0xf bank_mask:0xf// 00000000769C: 0A5C38FA FF015013
	v_mov_b32_e32 v47, v46                                     // 0000000076A4: 7E5E032E
	v_pk_mul_f32 v[160:161], v[46:47], v[160:161]              // 0000000076A8: D3B140A0 1803412E
	v_pk_mul_f32 v[162:163], v[46:47], v[162:163]              // 0000000076B0: D3B140A2 1803452E
	v_pk_mul_f32 v[164:165], v[46:47], v[164:165]              // 0000000076B8: D3B140A4 1803492E
	v_pk_mul_f32 v[166:167], v[46:47], v[166:167]              // 0000000076C0: D3B140A6 18034D2E
	v_mul_f32_dpp v46, v19, v28 row_newbcast:1 row_mask:0xf bank_mask:0xf// 0000000076C8: 0A5C38FA FF015113
	v_mov_b32_e32 v47, v46                                     // 0000000076D0: 7E5E032E
	v_pk_mul_f32 v[168:169], v[46:47], v[168:169]              // 0000000076D4: D3B140A8 1803512E
	v_pk_mul_f32 v[170:171], v[46:47], v[170:171]              // 0000000076DC: D3B140AA 1803552E
	v_pk_mul_f32 v[172:173], v[46:47], v[172:173]              // 0000000076E4: D3B140AC 1803592E
	v_pk_mul_f32 v[174:175], v[46:47], v[174:175]              // 0000000076EC: D3B140AE 18035D2E
	s_waitcnt vmcnt(29)                                        // 0000000076F4: BF8C4F7D
	v_mfma_f32_16x16x128_f8f6f4 v[144:147], a[32:39], v[136:143], 0// 0000000076F8: D3AD0090 0A031120
	buffer_load_dwordx4 a[160:163], v37, s[12:15], 0 offen     // 000000007700: E05C1000 8083A025
	buffer_load_dwordx4 a[164:167], v37, s[12:15], 0 offen offset:1024// 000000007708: E05C1400 8083A425
	buffer_load_dwordx4 a[168:171], v38, s[12:15], 0 offen     // 000000007710: E05C1000 8083A826
	buffer_load_dwordx4 a[172:175], v38, s[12:15], 0 offen offset:1024// 000000007718: E05C1400 8083AC26
	v_mfma_f32_16x16x128_f8f6f4 v[148:151], a[40:47], v[136:143], 0// 000000007720: D3AD0094 0A031128
	ds_write_b64 v4, v[176:177] offset:29184                   // 000000007728: D89A7200 0000B004
	ds_write_b64 v4, v[178:179] offset:31360                   // 000000007730: D89A7A80 0000B204
	ds_write_b64 v4, v[180:181] offset:33536                   // 000000007738: D89A8300 0000B404
	ds_write_b64 v4, v[182:183] offset:35712                   // 000000007740: D89A8B80 0000B604
	s_waitcnt vmcnt(29)                                        // 000000007748: BF8C4F7D
	v_mfma_f32_16x16x128_f8f6f4 v[152:155], a[48:55], v[136:143], 0// 00000000774C: D3AD0098 0A031130
	buffer_load_dwordx4 a[176:179], v39, s[12:15], 0 offen     // 000000007754: E05C1000 8083B027
	buffer_load_dwordx4 a[180:183], v39, s[12:15], 0 offen offset:1024// 00000000775C: E05C1400 8083B427
	buffer_load_dwordx4 a[184:187], v40, s[12:15], 0 offen     // 000000007764: E05C1000 8083B828
	buffer_load_dwordx4 a[188:191], v40, s[12:15], 0 offen offset:1024// 00000000776C: E05C1400 8083BC28
	v_mfma_f32_16x16x128_f8f6f4 v[156:159], a[56:63], v[136:143], 0// 000000007774: D3AD009C 0A031138
	v_mul_f32_dpp v46, v19, v29 row_newbcast:2 row_mask:0xf bank_mask:0xf// 00000000777C: 0A5C3AFA FF015213
	v_mov_b32_e32 v47, v46                                     // 000000007784: 7E5E032E
	v_pk_fma_f32 v[160:161], v[144:145], v[46:47], v[160:161]  // 000000007788: D3B040A0 1E825D90
	v_pk_fma_f32 v[162:163], v[146:147], v[46:47], v[162:163]  // 000000007790: D3B040A2 1E8A5D92
	v_pk_fma_f32 v[164:165], v[148:149], v[46:47], v[164:165]  // 000000007798: D3B040A4 1E925D94
	v_pk_fma_f32 v[166:167], v[150:151], v[46:47], v[166:167]  // 0000000077A0: D3B040A6 1E9A5D96
	v_mul_f32_dpp v46, v19, v29 row_newbcast:3 row_mask:0xf bank_mask:0xf// 0000000077A8: 0A5C3AFA FF015313
	v_mov_b32_e32 v47, v46                                     // 0000000077B0: 7E5E032E
	v_pk_fma_f32 v[168:169], v[152:153], v[46:47], v[168:169]  // 0000000077B4: D3B040A8 1EA25D98
	v_pk_fma_f32 v[170:171], v[154:155], v[46:47], v[170:171]  // 0000000077BC: D3B040AA 1EAA5D9A
	v_pk_fma_f32 v[172:173], v[156:157], v[46:47], v[172:173]  // 0000000077C4: D3B040AC 1EB25D9C
	v_pk_fma_f32 v[174:175], v[158:159], v[46:47], v[174:175]  // 0000000077CC: D3B040AE 1EBA5D9E
	s_add_u32 s60, 0x300, s80                                  // 0000000077D4: 803C50FF 00000300
	s_cmp_lt_u32 s60, s81                                      // 0000000077DC: BF0A513C
	s_cselect_b32 s56, s56, 0                                  // 0000000077E0: 85388038
	s_cselect_b32 s78, s78, 0                                  // 0000000077E4: 854E804E
	s_cselect_b32 s79, s79, 0                                  // 0000000077E8: 854F804F
	s_add_u32 s12, s56, s12                                    // 0000000077EC: 800C0C38
	s_addc_u32 s13, 0, s13                                     // 0000000077F0: 820D0D80
	s_add_u32 s16, s79, s16                                    // 0000000077F4: 8010104F
	s_addc_u32 s17, 0, s17                                     // 0000000077F8: 82111180
	v_mov_b32_e32 v46, v23                                     // 0000000077FC: 7E5C0317
	v_mov_b32_e32 v47, v23                                     // 000000007800: 7E5E0317
	v_pk_mul_f32 v[160:161], v[46:47], v[160:161]              // 000000007804: D3B140A0 1803412E
	v_pk_mul_f32 v[162:163], v[46:47], v[162:163]              // 00000000780C: D3B140A2 1803452E
	v_pk_mul_f32 v[164:165], v[46:47], v[164:165]              // 000000007814: D3B140A4 1803492E
	v_pk_mul_f32 v[166:167], v[46:47], v[166:167]              // 00000000781C: D3B140A6 18034D2E
	v_pk_mul_f32 v[168:169], v[46:47], v[168:169]              // 000000007824: D3B140A8 1803512E
	v_pk_mul_f32 v[170:171], v[46:47], v[170:171]              // 00000000782C: D3B140AA 1803552E
	v_pk_mul_f32 v[172:173], v[46:47], v[172:173]              // 000000007834: D3B140AC 1803592E
	v_pk_mul_f32 v[174:175], v[46:47], v[174:175]              // 00000000783C: D3B140AE 18035D2E
	v_cvt_pk_bf16_f32 v160, v160, v161                         // 000000007844: D26800A0 000343A0
	v_cvt_pk_bf16_f32 v161, v162, v163                         // 00000000784C: D26800A1 000347A2
	v_cvt_pk_bf16_f32 v162, v164, v165                         // 000000007854: D26800A2 00034BA4
	v_cvt_pk_bf16_f32 v163, v166, v167                         // 00000000785C: D26800A3 00034FA6
	v_cvt_pk_bf16_f32 v164, v168, v169                         // 000000007864: D26800A4 000353A8
	v_cvt_pk_bf16_f32 v165, v170, v171                         // 00000000786C: D26800A5 000357AA
	v_cvt_pk_bf16_f32 v166, v172, v173                         // 000000007874: D26800A6 00035BAC
	v_cvt_pk_bf16_f32 v167, v174, v175                         // 00000000787C: D26800A7 00035FAE
	s_cmp_ge_u32 s80, 0x200                                    // 000000007884: BF09FF50 00000200
	s_cselect_b32 s59, 0x200, s59                              // 00000000788C: 853B3BFF 00000200
	s_waitcnt lgkmcnt(0)                                       // 000000007894: BF8CC07F
	s_barrier                                                  // 000000007898: BF8A0000
	s_setvskip s20, 0                                          // 00000000789C: BF108014
	global_atomic_pk_add_bf16 v80, v64, s[8:9]                 // 0000000078A0: DD488000 00084050
	s_setvskip 0, 0                                            // 0000000078A8: BF108080
	s_setvskip s20, 0                                          // 0000000078AC: BF108014
	global_atomic_pk_add_bf16 v80, v65, s[8:9] offset:256      // 0000000078B0: DD488100 00084150
	s_setvskip 0, 0                                            // 0000000078B8: BF108080
	s_setvskip s20, 1                                          // 0000000078BC: BF108114
	global_atomic_pk_add_bf16 v82, v66, s[8:9]                 // 0000000078C0: DD488000 00084252
	s_setvskip 0, 0                                            // 0000000078C8: BF108080
	s_setvskip s20, 1                                          // 0000000078CC: BF108114
	global_atomic_pk_add_bf16 v82, v67, s[8:9] offset:256      // 0000000078D0: DD488100 00084352
	s_setvskip 0, 0                                            // 0000000078D8: BF108080
	s_setvskip s20, 2                                          // 0000000078DC: BF108214
	global_atomic_pk_add_bf16 v84, v68, s[8:9]                 // 0000000078E0: DD488000 00084454
	s_setvskip 0, 0                                            // 0000000078E8: BF108080
	s_setvskip s20, 2                                          // 0000000078EC: BF108214
	global_atomic_pk_add_bf16 v84, v69, s[8:9] offset:256      // 0000000078F0: DD488100 00084554
	s_setvskip 0, 0                                            // 0000000078F8: BF108080
	s_setvskip s20, 3                                          // 0000000078FC: BF108314
	global_atomic_pk_add_bf16 v86, v70, s[8:9]                 // 000000007900: DD488000 00084656
	s_setvskip 0, 0                                            // 000000007908: BF108080
	s_setvskip s20, 3                                          // 00000000790C: BF108314
	global_atomic_pk_add_bf16 v86, v71, s[8:9] offset:256      // 000000007910: DD488100 00084756
	s_setvskip 0, 0                                            // 000000007918: BF108080
	s_add_u32 s8, s59, s8                                      // 00000000791C: 8008083B
	s_addc_u32 s9, 0, s9                                       // 000000007920: 82090980
	s_addk_i32 s80, 0x100                                      // 000000007924: B7500100
	s_cmp_lt_i32 s80, s81                                      // 000000007928: BF045150
	s_cbranch_scc0 label_0CED                                  // 00000000792C: BF84FA21
	s_waitcnt vmcnt(29) lgkmcnt(0)                             // 000000007930: BF8C407D
	s_barrier                                                  // 000000007934: BF8A0000
	v_mfma_f32_16x16x128_f8f6f4 v[176:179], a[64:71], v[128:135], 0// 000000007938: D3AD00B0 0A030140
	buffer_load_dword v19, v6, s[16:19], 0 offen               // 000000007940: E0501000 80041306
	buffer_load_dwordx4 a[0:3], v37, s[12:15], 0 offen         // 000000007948: E05C1000 80830025
	buffer_load_dwordx4 a[4:7], v37, s[12:15], 0 offen offset:1024// 000000007950: E05C1400 80830425
	buffer_load_dwordx4 a[8:11], v38, s[12:15], 0 offen        // 000000007958: E05C1000 80830826
	buffer_load_dwordx4 a[12:15], v38, s[12:15], 0 offen offset:1024// 000000007960: E05C1400 80830C26
	v_mfma_f32_16x16x128_f8f6f4 v[180:183], a[72:79], v[128:135], 0// 000000007968: D3AD00B4 0A030148
	ds_read_b32 v64, v5 offset:29184                           // 000000007970: D86C7200 40000005
	ds_read_b32 v65, v5 offset:33536                           // 000000007978: D86C8300 41000005
	ds_read_b32 v66, v5 offset:29192                           // 000000007980: D86C7208 42000005
	ds_read_b32 v67, v5 offset:33544                           // 000000007988: D86C8308 43000005
	ds_read_b32 v68, v5 offset:29216                           // 000000007990: D86C7220 44000005
	ds_read_b32 v69, v5 offset:33568                           // 000000007998: D86C8320 45000005
	ds_read_b32 v70, v5 offset:29224                           // 0000000079A0: D86C7228 46000005
	ds_read_b32 v71, v5 offset:33576                           // 0000000079A8: D86C8328 47000005
	s_waitcnt vmcnt(29)                                        // 0000000079B0: BF8C4F7D
	v_mfma_f32_16x16x128_f8f6f4 v[184:187], a[80:87], v[128:135], 0// 0000000079B4: D3AD00B8 0A030150
	buffer_load_dwordx4 a[16:19], v39, s[12:15], 0 offen       // 0000000079BC: E05C1000 80831027
	buffer_load_dwordx4 a[20:23], v39, s[12:15], 0 offen offset:1024// 0000000079C4: E05C1400 80831427
	buffer_load_dwordx4 a[24:27], v40, s[12:15], 0 offen       // 0000000079CC: E05C1000 80831828
	buffer_load_dwordx4 a[28:31], v40, s[12:15], 0 offen offset:1024// 0000000079D4: E05C1400 80831C28
	s_add_u32 s12, s78, s12                                    // 0000000079DC: 800C0C4E
	s_addc_u32 s13, 0, s13                                     // 0000000079E0: 820D0D80
	v_mfma_f32_16x16x128_f8f6f4 v[188:191], a[88:95], v[128:135], 0// 0000000079E4: D3AD00BC 0A030158
	v_mul_f32_dpp v46, v20, v28 row_newbcast:0 row_mask:0xf bank_mask:0xf// 0000000079EC: 0A5C38FA FF015014
	v_mov_b32_e32 v47, v46                                     // 0000000079F4: 7E5E032E
	v_pk_mul_f32 v[176:177], v[46:47], v[176:177]              // 0000000079F8: D3B140B0 1803612E
	v_pk_mul_f32 v[178:179], v[46:47], v[178:179]              // 000000007A00: D3B140B2 1803652E
	v_pk_mul_f32 v[180:181], v[46:47], v[180:181]              // 000000007A08: D3B140B4 1803692E
	v_pk_mul_f32 v[182:183], v[46:47], v[182:183]              // 000000007A10: D3B140B6 18036D2E
	v_mul_f32_dpp v46, v20, v28 row_newbcast:1 row_mask:0xf bank_mask:0xf// 000000007A18: 0A5C38FA FF015114
	v_mov_b32_e32 v47, v46                                     // 000000007A20: 7E5E032E
	v_pk_mul_f32 v[184:185], v[46:47], v[184:185]              // 000000007A24: D3B140B8 1803712E
	v_pk_mul_f32 v[186:187], v[46:47], v[186:187]              // 000000007A2C: D3B140BA 1803752E
	v_pk_mul_f32 v[188:189], v[46:47], v[188:189]              // 000000007A34: D3B140BC 1803792E
	v_pk_mul_f32 v[190:191], v[46:47], v[190:191]              // 000000007A3C: D3B140BE 18037D2E
	s_waitcnt vmcnt(29)                                        // 000000007A44: BF8C4F7D
	v_mfma_f32_16x16x128_f8f6f4 v[144:147], a[96:103], v[136:143], 0// 000000007A48: D3AD0090 0A031160
	buffer_load_dwordx4 a[32:35], v37, s[12:15], 0 offen       // 000000007A50: E05C1000 80832025
	buffer_load_dwordx4 a[36:39], v37, s[12:15], 0 offen offset:1024// 000000007A58: E05C1400 80832425
	buffer_load_dwordx4 a[40:43], v38, s[12:15], 0 offen       // 000000007A60: E05C1000 80832826
	buffer_load_dwordx4 a[44:47], v38, s[12:15], 0 offen offset:1024// 000000007A68: E05C1400 80832C26
	v_mfma_f32_16x16x128_f8f6f4 v[148:151], a[104:111], v[136:143], 0// 000000007A70: D3AD0094 0A031168
	ds_write_b64 v4, v[160:161] offset:11776                   // 000000007A78: D89A2E00 0000A004
	ds_write_b64 v4, v[162:163] offset:13952                   // 000000007A80: D89A3680 0000A204
	ds_write_b64 v4, v[164:165] offset:16128                   // 000000007A88: D89A3F00 0000A404
	ds_write_b64 v4, v[166:167] offset:18304                   // 000000007A90: D89A4780 0000A604
	s_waitcnt vmcnt(29)                                        // 000000007A98: BF8C4F7D
	v_mfma_f32_16x16x128_f8f6f4 v[152:155], a[112:119], v[136:143], 0// 000000007A9C: D3AD0098 0A031170
	buffer_load_dwordx4 a[48:51], v39, s[12:15], 0 offen       // 000000007AA4: E05C1000 80833027
	buffer_load_dwordx4 a[52:55], v39, s[12:15], 0 offen offset:1024// 000000007AAC: E05C1400 80833427
	buffer_load_dwordx4 a[56:59], v40, s[12:15], 0 offen       // 000000007AB4: E05C1000 80833828
	buffer_load_dwordx4 a[60:63], v40, s[12:15], 0 offen offset:1024// 000000007ABC: E05C1400 80833C28
	v_mfma_f32_16x16x128_f8f6f4 v[156:159], a[120:127], v[136:143], 0// 000000007AC4: D3AD009C 0A031178
	v_mul_f32_dpp v46, v20, v29 row_newbcast:2 row_mask:0xf bank_mask:0xf// 000000007ACC: 0A5C3AFA FF015214
	v_mov_b32_e32 v47, v46                                     // 000000007AD4: 7E5E032E
	v_pk_fma_f32 v[176:177], v[144:145], v[46:47], v[176:177]  // 000000007AD8: D3B040B0 1EC25D90
	v_pk_fma_f32 v[178:179], v[146:147], v[46:47], v[178:179]  // 000000007AE0: D3B040B2 1ECA5D92
	v_pk_fma_f32 v[180:181], v[148:149], v[46:47], v[180:181]  // 000000007AE8: D3B040B4 1ED25D94
	v_pk_fma_f32 v[182:183], v[150:151], v[46:47], v[182:183]  // 000000007AF0: D3B040B6 1EDA5D96
	v_mul_f32_dpp v46, v20, v29 row_newbcast:3 row_mask:0xf bank_mask:0xf// 000000007AF8: 0A5C3AFA FF015314
	v_mov_b32_e32 v47, v46                                     // 000000007B00: 7E5E032E
	v_pk_fma_f32 v[184:185], v[152:153], v[46:47], v[184:185]  // 000000007B04: D3B040B8 1EE25D98
	v_pk_fma_f32 v[186:187], v[154:155], v[46:47], v[186:187]  // 000000007B0C: D3B040BA 1EEA5D9A
	v_pk_fma_f32 v[188:189], v[156:157], v[46:47], v[188:189]  // 000000007B14: D3B040BC 1EF25D9C
	v_pk_fma_f32 v[190:191], v[158:159], v[46:47], v[190:191]  // 000000007B1C: D3B040BE 1EFA5D9E
	s_add_u32 s60, 0x300, s80                                  // 000000007B24: 803C50FF 00000300
	s_cmp_lt_u32 s60, s81                                      // 000000007B2C: BF0A513C
	s_cselect_b32 s56, s56, 0                                  // 000000007B30: 85388038
	s_cselect_b32 s78, s78, 0                                  // 000000007B34: 854E804E
	s_cselect_b32 s79, s79, 0                                  // 000000007B38: 854F804F
	s_add_u32 s12, s56, s12                                    // 000000007B3C: 800C0C38
	s_addc_u32 s13, 0, s13                                     // 000000007B40: 820D0D80
	s_add_u32 s16, s79, s16                                    // 000000007B44: 8010104F
	s_addc_u32 s17, 0, s17                                     // 000000007B48: 82111180
	v_mov_b32_e32 v46, v23                                     // 000000007B4C: 7E5C0317
	v_mov_b32_e32 v47, v23                                     // 000000007B50: 7E5E0317
	v_pk_mul_f32 v[176:177], v[46:47], v[176:177]              // 000000007B54: D3B140B0 1803612E
	v_pk_mul_f32 v[178:179], v[46:47], v[178:179]              // 000000007B5C: D3B140B2 1803652E
	v_pk_mul_f32 v[180:181], v[46:47], v[180:181]              // 000000007B64: D3B140B4 1803692E
	v_pk_mul_f32 v[182:183], v[46:47], v[182:183]              // 000000007B6C: D3B140B6 18036D2E
	v_pk_mul_f32 v[184:185], v[46:47], v[184:185]              // 000000007B74: D3B140B8 1803712E
	v_pk_mul_f32 v[186:187], v[46:47], v[186:187]              // 000000007B7C: D3B140BA 1803752E
	v_pk_mul_f32 v[188:189], v[46:47], v[188:189]              // 000000007B84: D3B140BC 1803792E
	v_pk_mul_f32 v[190:191], v[46:47], v[190:191]              // 000000007B8C: D3B140BE 18037D2E
	v_cvt_pk_bf16_f32 v176, v176, v177                         // 000000007B94: D26800B0 000363B0
	v_cvt_pk_bf16_f32 v177, v178, v179                         // 000000007B9C: D26800B1 000367B2
	v_cvt_pk_bf16_f32 v178, v180, v181                         // 000000007BA4: D26800B2 00036BB4
	v_cvt_pk_bf16_f32 v179, v182, v183                         // 000000007BAC: D26800B3 00036FB6
	v_cvt_pk_bf16_f32 v180, v184, v185                         // 000000007BB4: D26800B4 000373B8
	v_cvt_pk_bf16_f32 v181, v186, v187                         // 000000007BBC: D26800B5 000377BA
	v_cvt_pk_bf16_f32 v182, v188, v189                         // 000000007BC4: D26800B6 00037BBC
	v_cvt_pk_bf16_f32 v183, v190, v191                         // 000000007BCC: D26800B7 00037FBE
	s_cmp_ge_u32 s80, 0x200                                    // 000000007BD4: BF09FF50 00000200
	s_cselect_b32 s59, 0x200, s59                              // 000000007BDC: 853B3BFF 00000200
	s_waitcnt lgkmcnt(0)                                       // 000000007BE4: BF8CC07F
	s_barrier                                                  // 000000007BE8: BF8A0000
	s_setvskip s20, 0                                          // 000000007BEC: BF108014
	global_atomic_pk_add_bf16 v80, v64, s[8:9]                 // 000000007BF0: DD488000 00084050
	s_setvskip 0, 0                                            // 000000007BF8: BF108080
	s_setvskip s20, 0                                          // 000000007BFC: BF108014
	global_atomic_pk_add_bf16 v80, v65, s[8:9] offset:256      // 000000007C00: DD488100 00084150
	s_setvskip 0, 0                                            // 000000007C08: BF108080
	s_setvskip s20, 1                                          // 000000007C0C: BF108114
	global_atomic_pk_add_bf16 v82, v66, s[8:9]                 // 000000007C10: DD488000 00084252
	s_setvskip 0, 0                                            // 000000007C18: BF108080
	s_setvskip s20, 1                                          // 000000007C1C: BF108114
	global_atomic_pk_add_bf16 v82, v67, s[8:9] offset:256      // 000000007C20: DD488100 00084352
	s_setvskip 0, 0                                            // 000000007C28: BF108080
	s_setvskip s20, 2                                          // 000000007C2C: BF108214
	global_atomic_pk_add_bf16 v84, v68, s[8:9]                 // 000000007C30: DD488000 00084454
	s_setvskip 0, 0                                            // 000000007C38: BF108080
	s_setvskip s20, 2                                          // 000000007C3C: BF108214
	global_atomic_pk_add_bf16 v84, v69, s[8:9] offset:256      // 000000007C40: DD488100 00084554
	s_setvskip 0, 0                                            // 000000007C48: BF108080
	s_setvskip s20, 3                                          // 000000007C4C: BF108314
	global_atomic_pk_add_bf16 v86, v70, s[8:9]                 // 000000007C50: DD488000 00084656
	s_setvskip 0, 0                                            // 000000007C58: BF108080
	s_setvskip s20, 3                                          // 000000007C5C: BF108314
	global_atomic_pk_add_bf16 v86, v71, s[8:9] offset:256      // 000000007C60: DD488100 00084756
	s_setvskip 0, 0                                            // 000000007C68: BF108080
	s_add_u32 s8, s59, s8                                      // 000000007C6C: 8008083B
	s_addc_u32 s9, 0, s9                                       // 000000007C70: 82090980
	s_addk_i32 s80, 0x100                                      // 000000007C74: B7500100
	s_cmp_lt_i32 s80, s81                                      // 000000007C78: BF045150
	s_cbranch_scc0 label_0CED                                  // 000000007C7C: BF84F94D
	s_waitcnt vmcnt(29) lgkmcnt(0)                             // 000000007C80: BF8C407D
	s_barrier                                                  // 000000007C84: BF8A0000
	v_mfma_f32_16x16x128_f8f6f4 v[160:163], a[128:135], v[128:135], 0// 000000007C88: D3AD00A0 0A030180
	buffer_load_dword v20, v6, s[16:19], 0 offen               // 000000007C90: E0501000 80041406
	buffer_load_dwordx4 a[64:67], v37, s[12:15], 0 offen       // 000000007C98: E05C1000 80834025
	buffer_load_dwordx4 a[68:71], v37, s[12:15], 0 offen offset:1024// 000000007CA0: E05C1400 80834425
	buffer_load_dwordx4 a[72:75], v38, s[12:15], 0 offen       // 000000007CA8: E05C1000 80834826
	buffer_load_dwordx4 a[76:79], v38, s[12:15], 0 offen offset:1024// 000000007CB0: E05C1400 80834C26
	v_mfma_f32_16x16x128_f8f6f4 v[164:167], a[136:143], v[128:135], 0// 000000007CB8: D3AD00A4 0A030188
	ds_read_b32 v64, v5 offset:11776                           // 000000007CC0: D86C2E00 40000005
	ds_read_b32 v65, v5 offset:16128                           // 000000007CC8: D86C3F00 41000005
	ds_read_b32 v66, v5 offset:11784                           // 000000007CD0: D86C2E08 42000005
	ds_read_b32 v67, v5 offset:16136                           // 000000007CD8: D86C3F08 43000005
	ds_read_b32 v68, v5 offset:11808                           // 000000007CE0: D86C2E20 44000005
	ds_read_b32 v69, v5 offset:16160                           // 000000007CE8: D86C3F20 45000005
	ds_read_b32 v70, v5 offset:11816                           // 000000007CF0: D86C2E28 46000005
	ds_read_b32 v71, v5 offset:16168                           // 000000007CF8: D86C3F28 47000005
	s_waitcnt vmcnt(29)                                        // 000000007D00: BF8C4F7D
	v_mfma_f32_16x16x128_f8f6f4 v[168:171], a[144:151], v[128:135], 0// 000000007D04: D3AD00A8 0A030190
	buffer_load_dwordx4 a[80:83], v39, s[12:15], 0 offen       // 000000007D0C: E05C1000 80835027
	buffer_load_dwordx4 a[84:87], v39, s[12:15], 0 offen offset:1024// 000000007D14: E05C1400 80835427
	buffer_load_dwordx4 a[88:91], v40, s[12:15], 0 offen       // 000000007D1C: E05C1000 80835828
	buffer_load_dwordx4 a[92:95], v40, s[12:15], 0 offen offset:1024// 000000007D24: E05C1400 80835C28
	s_add_u32 s12, s78, s12                                    // 000000007D2C: 800C0C4E
	s_addc_u32 s13, 0, s13                                     // 000000007D30: 820D0D80
	v_mfma_f32_16x16x128_f8f6f4 v[172:175], a[152:159], v[128:135], 0// 000000007D34: D3AD00AC 0A030198
	v_mul_f32_dpp v46, v21, v28 row_newbcast:0 row_mask:0xf bank_mask:0xf// 000000007D3C: 0A5C38FA FF015015
	v_mov_b32_e32 v47, v46                                     // 000000007D44: 7E5E032E
	v_pk_mul_f32 v[160:161], v[46:47], v[160:161]              // 000000007D48: D3B140A0 1803412E
	v_pk_mul_f32 v[162:163], v[46:47], v[162:163]              // 000000007D50: D3B140A2 1803452E
	v_pk_mul_f32 v[164:165], v[46:47], v[164:165]              // 000000007D58: D3B140A4 1803492E
	v_pk_mul_f32 v[166:167], v[46:47], v[166:167]              // 000000007D60: D3B140A6 18034D2E
	v_mul_f32_dpp v46, v21, v28 row_newbcast:1 row_mask:0xf bank_mask:0xf// 000000007D68: 0A5C38FA FF015115
	v_mov_b32_e32 v47, v46                                     // 000000007D70: 7E5E032E
	v_pk_mul_f32 v[168:169], v[46:47], v[168:169]              // 000000007D74: D3B140A8 1803512E
	v_pk_mul_f32 v[170:171], v[46:47], v[170:171]              // 000000007D7C: D3B140AA 1803552E
	v_pk_mul_f32 v[172:173], v[46:47], v[172:173]              // 000000007D84: D3B140AC 1803592E
	v_pk_mul_f32 v[174:175], v[46:47], v[174:175]              // 000000007D8C: D3B140AE 18035D2E
	s_waitcnt vmcnt(29)                                        // 000000007D94: BF8C4F7D
	v_mfma_f32_16x16x128_f8f6f4 v[144:147], a[160:167], v[136:143], 0// 000000007D98: D3AD0090 0A0311A0
	buffer_load_dwordx4 a[96:99], v37, s[12:15], 0 offen       // 000000007DA0: E05C1000 80836025
	buffer_load_dwordx4 a[100:103], v37, s[12:15], 0 offen offset:1024// 000000007DA8: E05C1400 80836425
	buffer_load_dwordx4 a[104:107], v38, s[12:15], 0 offen     // 000000007DB0: E05C1000 80836826
	buffer_load_dwordx4 a[108:111], v38, s[12:15], 0 offen offset:1024// 000000007DB8: E05C1400 80836C26
	v_mfma_f32_16x16x128_f8f6f4 v[148:151], a[168:175], v[136:143], 0// 000000007DC0: D3AD0094 0A0311A8
	ds_write_b64 v4, v[176:177] offset:29184                   // 000000007DC8: D89A7200 0000B004
	ds_write_b64 v4, v[178:179] offset:31360                   // 000000007DD0: D89A7A80 0000B204
	ds_write_b64 v4, v[180:181] offset:33536                   // 000000007DD8: D89A8300 0000B404
	ds_write_b64 v4, v[182:183] offset:35712                   // 000000007DE0: D89A8B80 0000B604
	s_waitcnt vmcnt(29)                                        // 000000007DE8: BF8C4F7D
	v_mfma_f32_16x16x128_f8f6f4 v[152:155], a[176:183], v[136:143], 0// 000000007DEC: D3AD0098 0A0311B0
	buffer_load_dwordx4 a[112:115], v39, s[12:15], 0 offen     // 000000007DF4: E05C1000 80837027
	buffer_load_dwordx4 a[116:119], v39, s[12:15], 0 offen offset:1024// 000000007DFC: E05C1400 80837427
	buffer_load_dwordx4 a[120:123], v40, s[12:15], 0 offen     // 000000007E04: E05C1000 80837828
	buffer_load_dwordx4 a[124:127], v40, s[12:15], 0 offen offset:1024// 000000007E0C: E05C1400 80837C28
	v_mfma_f32_16x16x128_f8f6f4 v[156:159], a[184:191], v[136:143], 0// 000000007E14: D3AD009C 0A0311B8
	v_mul_f32_dpp v46, v21, v29 row_newbcast:2 row_mask:0xf bank_mask:0xf// 000000007E1C: 0A5C3AFA FF015215
	v_mov_b32_e32 v47, v46                                     // 000000007E24: 7E5E032E
	v_pk_fma_f32 v[160:161], v[144:145], v[46:47], v[160:161]  // 000000007E28: D3B040A0 1E825D90
	v_pk_fma_f32 v[162:163], v[146:147], v[46:47], v[162:163]  // 000000007E30: D3B040A2 1E8A5D92
	v_pk_fma_f32 v[164:165], v[148:149], v[46:47], v[164:165]  // 000000007E38: D3B040A4 1E925D94
	v_pk_fma_f32 v[166:167], v[150:151], v[46:47], v[166:167]  // 000000007E40: D3B040A6 1E9A5D96
	v_mul_f32_dpp v46, v21, v29 row_newbcast:3 row_mask:0xf bank_mask:0xf// 000000007E48: 0A5C3AFA FF015315
	v_mov_b32_e32 v47, v46                                     // 000000007E50: 7E5E032E
	v_pk_fma_f32 v[168:169], v[152:153], v[46:47], v[168:169]  // 000000007E54: D3B040A8 1EA25D98
	v_pk_fma_f32 v[170:171], v[154:155], v[46:47], v[170:171]  // 000000007E5C: D3B040AA 1EAA5D9A
	v_pk_fma_f32 v[172:173], v[156:157], v[46:47], v[172:173]  // 000000007E64: D3B040AC 1EB25D9C
	v_pk_fma_f32 v[174:175], v[158:159], v[46:47], v[174:175]  // 000000007E6C: D3B040AE 1EBA5D9E
	s_add_u32 s60, 0x300, s80                                  // 000000007E74: 803C50FF 00000300
	s_cmp_lt_u32 s60, s81                                      // 000000007E7C: BF0A513C
	s_cselect_b32 s56, s56, 0                                  // 000000007E80: 85388038
	s_cselect_b32 s78, s78, 0                                  // 000000007E84: 854E804E
	s_cselect_b32 s79, s79, 0                                  // 000000007E88: 854F804F
	s_add_u32 s12, s56, s12                                    // 000000007E8C: 800C0C38
	s_addc_u32 s13, 0, s13                                     // 000000007E90: 820D0D80
	s_add_u32 s16, s79, s16                                    // 000000007E94: 8010104F
	s_addc_u32 s17, 0, s17                                     // 000000007E98: 82111180
	v_mov_b32_e32 v46, v23                                     // 000000007E9C: 7E5C0317
	v_mov_b32_e32 v47, v23                                     // 000000007EA0: 7E5E0317
	v_pk_mul_f32 v[160:161], v[46:47], v[160:161]              // 000000007EA4: D3B140A0 1803412E
	v_pk_mul_f32 v[162:163], v[46:47], v[162:163]              // 000000007EAC: D3B140A2 1803452E
	v_pk_mul_f32 v[164:165], v[46:47], v[164:165]              // 000000007EB4: D3B140A4 1803492E
	v_pk_mul_f32 v[166:167], v[46:47], v[166:167]              // 000000007EBC: D3B140A6 18034D2E
	v_pk_mul_f32 v[168:169], v[46:47], v[168:169]              // 000000007EC4: D3B140A8 1803512E
	v_pk_mul_f32 v[170:171], v[46:47], v[170:171]              // 000000007ECC: D3B140AA 1803552E
	v_pk_mul_f32 v[172:173], v[46:47], v[172:173]              // 000000007ED4: D3B140AC 1803592E
	v_pk_mul_f32 v[174:175], v[46:47], v[174:175]              // 000000007EDC: D3B140AE 18035D2E
	v_cvt_pk_bf16_f32 v160, v160, v161                         // 000000007EE4: D26800A0 000343A0
	v_cvt_pk_bf16_f32 v161, v162, v163                         // 000000007EEC: D26800A1 000347A2
	v_cvt_pk_bf16_f32 v162, v164, v165                         // 000000007EF4: D26800A2 00034BA4
	v_cvt_pk_bf16_f32 v163, v166, v167                         // 000000007EFC: D26800A3 00034FA6
	v_cvt_pk_bf16_f32 v164, v168, v169                         // 000000007F04: D26800A4 000353A8
	v_cvt_pk_bf16_f32 v165, v170, v171                         // 000000007F0C: D26800A5 000357AA
	v_cvt_pk_bf16_f32 v166, v172, v173                         // 000000007F14: D26800A6 00035BAC
	v_cvt_pk_bf16_f32 v167, v174, v175                         // 000000007F1C: D26800A7 00035FAE
	s_cmp_ge_u32 s80, 0x200                                    // 000000007F24: BF09FF50 00000200
	s_cselect_b32 s59, 0x200, s59                              // 000000007F2C: 853B3BFF 00000200
	s_waitcnt lgkmcnt(0)                                       // 000000007F34: BF8CC07F
	s_barrier                                                  // 000000007F38: BF8A0000
	s_setvskip s20, 0                                          // 000000007F3C: BF108014
	global_atomic_pk_add_bf16 v80, v64, s[8:9]                 // 000000007F40: DD488000 00084050
	s_setvskip 0, 0                                            // 000000007F48: BF108080
	s_setvskip s20, 0                                          // 000000007F4C: BF108014
	global_atomic_pk_add_bf16 v80, v65, s[8:9] offset:256      // 000000007F50: DD488100 00084150
	s_setvskip 0, 0                                            // 000000007F58: BF108080
	s_setvskip s20, 1                                          // 000000007F5C: BF108114
	global_atomic_pk_add_bf16 v82, v66, s[8:9]                 // 000000007F60: DD488000 00084252
	s_setvskip 0, 0                                            // 000000007F68: BF108080
	s_setvskip s20, 1                                          // 000000007F6C: BF108114
	global_atomic_pk_add_bf16 v82, v67, s[8:9] offset:256      // 000000007F70: DD488100 00084352
	s_setvskip 0, 0                                            // 000000007F78: BF108080
	s_setvskip s20, 2                                          // 000000007F7C: BF108214
	global_atomic_pk_add_bf16 v84, v68, s[8:9]                 // 000000007F80: DD488000 00084454
	s_setvskip 0, 0                                            // 000000007F88: BF108080
	s_setvskip s20, 2                                          // 000000007F8C: BF108214
	global_atomic_pk_add_bf16 v84, v69, s[8:9] offset:256      // 000000007F90: DD488100 00084554
	s_setvskip 0, 0                                            // 000000007F98: BF108080
	s_setvskip s20, 3                                          // 000000007F9C: BF108314
	global_atomic_pk_add_bf16 v86, v70, s[8:9]                 // 000000007FA0: DD488000 00084656
	s_setvskip 0, 0                                            // 000000007FA8: BF108080
	s_setvskip s20, 3                                          // 000000007FAC: BF108314
	global_atomic_pk_add_bf16 v86, v71, s[8:9] offset:256      // 000000007FB0: DD488100 00084756
	s_setvskip 0, 0                                            // 000000007FB8: BF108080
	s_add_u32 s8, s59, s8                                      // 000000007FBC: 8008083B
	s_addc_u32 s9, 0, s9                                       // 000000007FC0: 82090980
	s_addk_i32 s80, 0x100                                      // 000000007FC4: B7500100
	s_cmp_lt_i32 s80, s81                                      // 000000007FC8: BF045150
	s_cbranch_scc0 label_0CED                                  // 000000007FCC: BF84F879
	s_waitcnt vmcnt(29) lgkmcnt(0)                             // 000000007FD0: BF8C407D
	s_barrier                                                  // 000000007FD4: BF8A0000
	v_mfma_f32_16x16x128_f8f6f4 v[176:179], a[0:7], v[128:135], 0// 000000007FD8: D3AD00B0 0A030100
	buffer_load_dword v21, v6, s[16:19], 0 offen               // 000000007FE0: E0501000 80041506
	buffer_load_dwordx4 a[128:131], v37, s[12:15], 0 offen     // 000000007FE8: E05C1000 80838025
	buffer_load_dwordx4 a[132:135], v37, s[12:15], 0 offen offset:1024// 000000007FF0: E05C1400 80838425
	buffer_load_dwordx4 a[136:139], v38, s[12:15], 0 offen     // 000000007FF8: E05C1000 80838826
	buffer_load_dwordx4 a[140:143], v38, s[12:15], 0 offen offset:1024// 000000008000: E05C1400 80838C26
	v_mfma_f32_16x16x128_f8f6f4 v[180:183], a[8:15], v[128:135], 0// 000000008008: D3AD00B4 0A030108
	ds_read_b32 v64, v5 offset:29184                           // 000000008010: D86C7200 40000005
	ds_read_b32 v65, v5 offset:33536                           // 000000008018: D86C8300 41000005
	ds_read_b32 v66, v5 offset:29192                           // 000000008020: D86C7208 42000005
	ds_read_b32 v67, v5 offset:33544                           // 000000008028: D86C8308 43000005
	ds_read_b32 v68, v5 offset:29216                           // 000000008030: D86C7220 44000005
	ds_read_b32 v69, v5 offset:33568                           // 000000008038: D86C8320 45000005
	ds_read_b32 v70, v5 offset:29224                           // 000000008040: D86C7228 46000005
	ds_read_b32 v71, v5 offset:33576                           // 000000008048: D86C8328 47000005
	s_waitcnt vmcnt(29)                                        // 000000008050: BF8C4F7D
	v_mfma_f32_16x16x128_f8f6f4 v[184:187], a[16:23], v[128:135], 0// 000000008054: D3AD00B8 0A030110
	buffer_load_dwordx4 a[144:147], v39, s[12:15], 0 offen     // 00000000805C: E05C1000 80839027
	buffer_load_dwordx4 a[148:151], v39, s[12:15], 0 offen offset:1024// 000000008064: E05C1400 80839427
	buffer_load_dwordx4 a[152:155], v40, s[12:15], 0 offen     // 00000000806C: E05C1000 80839828
	buffer_load_dwordx4 a[156:159], v40, s[12:15], 0 offen offset:1024// 000000008074: E05C1400 80839C28
	s_add_u32 s12, s78, s12                                    // 00000000807C: 800C0C4E
	s_addc_u32 s13, 0, s13                                     // 000000008080: 820D0D80
	v_mfma_f32_16x16x128_f8f6f4 v[188:191], a[24:31], v[128:135], 0// 000000008084: D3AD00BC 0A030118
	v_mul_f32_dpp v46, v19, v28 row_newbcast:0 row_mask:0xf bank_mask:0xf// 00000000808C: 0A5C38FA FF015013
	v_mov_b32_e32 v47, v46                                     // 000000008094: 7E5E032E
	v_pk_mul_f32 v[176:177], v[46:47], v[176:177]              // 000000008098: D3B140B0 1803612E
	v_pk_mul_f32 v[178:179], v[46:47], v[178:179]              // 0000000080A0: D3B140B2 1803652E
	v_pk_mul_f32 v[180:181], v[46:47], v[180:181]              // 0000000080A8: D3B140B4 1803692E
	v_pk_mul_f32 v[182:183], v[46:47], v[182:183]              // 0000000080B0: D3B140B6 18036D2E
	v_mul_f32_dpp v46, v19, v28 row_newbcast:1 row_mask:0xf bank_mask:0xf// 0000000080B8: 0A5C38FA FF015113
	v_mov_b32_e32 v47, v46                                     // 0000000080C0: 7E5E032E
	v_pk_mul_f32 v[184:185], v[46:47], v[184:185]              // 0000000080C4: D3B140B8 1803712E
	v_pk_mul_f32 v[186:187], v[46:47], v[186:187]              // 0000000080CC: D3B140BA 1803752E
	v_pk_mul_f32 v[188:189], v[46:47], v[188:189]              // 0000000080D4: D3B140BC 1803792E
	v_pk_mul_f32 v[190:191], v[46:47], v[190:191]              // 0000000080DC: D3B140BE 18037D2E
	s_waitcnt vmcnt(29)                                        // 0000000080E4: BF8C4F7D
	v_mfma_f32_16x16x128_f8f6f4 v[144:147], a[32:39], v[136:143], 0// 0000000080E8: D3AD0090 0A031120
	buffer_load_dwordx4 a[160:163], v37, s[12:15], 0 offen     // 0000000080F0: E05C1000 8083A025
	buffer_load_dwordx4 a[164:167], v37, s[12:15], 0 offen offset:1024// 0000000080F8: E05C1400 8083A425
	buffer_load_dwordx4 a[168:171], v38, s[12:15], 0 offen     // 000000008100: E05C1000 8083A826
	buffer_load_dwordx4 a[172:175], v38, s[12:15], 0 offen offset:1024// 000000008108: E05C1400 8083AC26
	v_mfma_f32_16x16x128_f8f6f4 v[148:151], a[40:47], v[136:143], 0// 000000008110: D3AD0094 0A031128
	ds_write_b64 v4, v[160:161] offset:11776                   // 000000008118: D89A2E00 0000A004
	ds_write_b64 v4, v[162:163] offset:13952                   // 000000008120: D89A3680 0000A204
	ds_write_b64 v4, v[164:165] offset:16128                   // 000000008128: D89A3F00 0000A404
	ds_write_b64 v4, v[166:167] offset:18304                   // 000000008130: D89A4780 0000A604
	s_waitcnt vmcnt(29)                                        // 000000008138: BF8C4F7D
	v_mfma_f32_16x16x128_f8f6f4 v[152:155], a[48:55], v[136:143], 0// 00000000813C: D3AD0098 0A031130
	buffer_load_dwordx4 a[176:179], v39, s[12:15], 0 offen     // 000000008144: E05C1000 8083B027
	buffer_load_dwordx4 a[180:183], v39, s[12:15], 0 offen offset:1024// 00000000814C: E05C1400 8083B427
	buffer_load_dwordx4 a[184:187], v40, s[12:15], 0 offen     // 000000008154: E05C1000 8083B828
	buffer_load_dwordx4 a[188:191], v40, s[12:15], 0 offen offset:1024// 00000000815C: E05C1400 8083BC28
	v_mfma_f32_16x16x128_f8f6f4 v[156:159], a[56:63], v[136:143], 0// 000000008164: D3AD009C 0A031138
	v_mul_f32_dpp v46, v19, v29 row_newbcast:2 row_mask:0xf bank_mask:0xf// 00000000816C: 0A5C3AFA FF015213
	v_mov_b32_e32 v47, v46                                     // 000000008174: 7E5E032E
	v_pk_fma_f32 v[176:177], v[144:145], v[46:47], v[176:177]  // 000000008178: D3B040B0 1EC25D90
	v_pk_fma_f32 v[178:179], v[146:147], v[46:47], v[178:179]  // 000000008180: D3B040B2 1ECA5D92
	v_pk_fma_f32 v[180:181], v[148:149], v[46:47], v[180:181]  // 000000008188: D3B040B4 1ED25D94
	v_pk_fma_f32 v[182:183], v[150:151], v[46:47], v[182:183]  // 000000008190: D3B040B6 1EDA5D96
	v_mul_f32_dpp v46, v19, v29 row_newbcast:3 row_mask:0xf bank_mask:0xf// 000000008198: 0A5C3AFA FF015313
	v_mov_b32_e32 v47, v46                                     // 0000000081A0: 7E5E032E
	v_pk_fma_f32 v[184:185], v[152:153], v[46:47], v[184:185]  // 0000000081A4: D3B040B8 1EE25D98
	v_pk_fma_f32 v[186:187], v[154:155], v[46:47], v[186:187]  // 0000000081AC: D3B040BA 1EEA5D9A
	v_pk_fma_f32 v[188:189], v[156:157], v[46:47], v[188:189]  // 0000000081B4: D3B040BC 1EF25D9C
	v_pk_fma_f32 v[190:191], v[158:159], v[46:47], v[190:191]  // 0000000081BC: D3B040BE 1EFA5D9E
	s_add_u32 s60, 0x300, s80                                  // 0000000081C4: 803C50FF 00000300
	s_cmp_lt_u32 s60, s81                                      // 0000000081CC: BF0A513C
	s_cselect_b32 s56, s56, 0                                  // 0000000081D0: 85388038
	s_cselect_b32 s78, s78, 0                                  // 0000000081D4: 854E804E
	s_cselect_b32 s79, s79, 0                                  // 0000000081D8: 854F804F
	s_add_u32 s12, s56, s12                                    // 0000000081DC: 800C0C38
	s_addc_u32 s13, 0, s13                                     // 0000000081E0: 820D0D80
	s_add_u32 s16, s79, s16                                    // 0000000081E4: 8010104F
	s_addc_u32 s17, 0, s17                                     // 0000000081E8: 82111180
	v_mov_b32_e32 v46, v23                                     // 0000000081EC: 7E5C0317
	v_mov_b32_e32 v47, v23                                     // 0000000081F0: 7E5E0317
	v_pk_mul_f32 v[176:177], v[46:47], v[176:177]              // 0000000081F4: D3B140B0 1803612E
	v_pk_mul_f32 v[178:179], v[46:47], v[178:179]              // 0000000081FC: D3B140B2 1803652E
	v_pk_mul_f32 v[180:181], v[46:47], v[180:181]              // 000000008204: D3B140B4 1803692E
	v_pk_mul_f32 v[182:183], v[46:47], v[182:183]              // 00000000820C: D3B140B6 18036D2E
	v_pk_mul_f32 v[184:185], v[46:47], v[184:185]              // 000000008214: D3B140B8 1803712E
	v_pk_mul_f32 v[186:187], v[46:47], v[186:187]              // 00000000821C: D3B140BA 1803752E
	v_pk_mul_f32 v[188:189], v[46:47], v[188:189]              // 000000008224: D3B140BC 1803792E
	v_pk_mul_f32 v[190:191], v[46:47], v[190:191]              // 00000000822C: D3B140BE 18037D2E
	v_cvt_pk_bf16_f32 v176, v176, v177                         // 000000008234: D26800B0 000363B0
	v_cvt_pk_bf16_f32 v177, v178, v179                         // 00000000823C: D26800B1 000367B2
	v_cvt_pk_bf16_f32 v178, v180, v181                         // 000000008244: D26800B2 00036BB4
	v_cvt_pk_bf16_f32 v179, v182, v183                         // 00000000824C: D26800B3 00036FB6
	v_cvt_pk_bf16_f32 v180, v184, v185                         // 000000008254: D26800B4 000373B8
	v_cvt_pk_bf16_f32 v181, v186, v187                         // 00000000825C: D26800B5 000377BA
	v_cvt_pk_bf16_f32 v182, v188, v189                         // 000000008264: D26800B6 00037BBC
	v_cvt_pk_bf16_f32 v183, v190, v191                         // 00000000826C: D26800B7 00037FBE
	s_cmp_ge_u32 s80, 0x200                                    // 000000008274: BF09FF50 00000200
	s_cselect_b32 s59, 0x200, s59                              // 00000000827C: 853B3BFF 00000200
	s_waitcnt lgkmcnt(0)                                       // 000000008284: BF8CC07F
	s_barrier                                                  // 000000008288: BF8A0000
	s_setvskip s20, 0                                          // 00000000828C: BF108014
	global_atomic_pk_add_bf16 v80, v64, s[8:9]                 // 000000008290: DD488000 00084050
	s_setvskip 0, 0                                            // 000000008298: BF108080
	s_setvskip s20, 0                                          // 00000000829C: BF108014
	global_atomic_pk_add_bf16 v80, v65, s[8:9] offset:256      // 0000000082A0: DD488100 00084150
	s_setvskip 0, 0                                            // 0000000082A8: BF108080
	s_setvskip s20, 1                                          // 0000000082AC: BF108114
	global_atomic_pk_add_bf16 v82, v66, s[8:9]                 // 0000000082B0: DD488000 00084252
	s_setvskip 0, 0                                            // 0000000082B8: BF108080
	s_setvskip s20, 1                                          // 0000000082BC: BF108114
	global_atomic_pk_add_bf16 v82, v67, s[8:9] offset:256      // 0000000082C0: DD488100 00084352
	s_setvskip 0, 0                                            // 0000000082C8: BF108080
	s_setvskip s20, 2                                          // 0000000082CC: BF108214
	global_atomic_pk_add_bf16 v84, v68, s[8:9]                 // 0000000082D0: DD488000 00084454
	s_setvskip 0, 0                                            // 0000000082D8: BF108080
	s_setvskip s20, 2                                          // 0000000082DC: BF108214
	global_atomic_pk_add_bf16 v84, v69, s[8:9] offset:256      // 0000000082E0: DD488100 00084554
	s_setvskip 0, 0                                            // 0000000082E8: BF108080
	s_setvskip s20, 3                                          // 0000000082EC: BF108314
	global_atomic_pk_add_bf16 v86, v70, s[8:9]                 // 0000000082F0: DD488000 00084656
	s_setvskip 0, 0                                            // 0000000082F8: BF108080
	s_setvskip s20, 3                                          // 0000000082FC: BF108314
	global_atomic_pk_add_bf16 v86, v71, s[8:9] offset:256      // 000000008300: DD488100 00084756
	s_setvskip 0, 0                                            // 000000008308: BF108080
	s_add_u32 s8, s59, s8                                      // 00000000830C: 8008083B
	s_addc_u32 s9, 0, s9                                       // 000000008310: 82090980
	s_addk_i32 s80, 0x100                                      // 000000008314: B7500100
	s_cmp_lt_i32 s80, s81                                      // 000000008318: BF045150
	s_cbranch_scc0 label_0CED                                  // 00000000831C: BF84F7A5
	s_waitcnt vmcnt(29) lgkmcnt(0)                             // 000000008320: BF8C407D
	s_barrier                                                  // 000000008324: BF8A0000
	v_mfma_f32_16x16x128_f8f6f4 v[160:163], a[64:71], v[128:135], 0// 000000008328: D3AD00A0 0A030140
	buffer_load_dword v19, v6, s[16:19], 0 offen               // 000000008330: E0501000 80041306
	buffer_load_dwordx4 a[0:3], v37, s[12:15], 0 offen         // 000000008338: E05C1000 80830025
	buffer_load_dwordx4 a[4:7], v37, s[12:15], 0 offen offset:1024// 000000008340: E05C1400 80830425
	buffer_load_dwordx4 a[8:11], v38, s[12:15], 0 offen        // 000000008348: E05C1000 80830826
	buffer_load_dwordx4 a[12:15], v38, s[12:15], 0 offen offset:1024// 000000008350: E05C1400 80830C26
	v_mfma_f32_16x16x128_f8f6f4 v[164:167], a[72:79], v[128:135], 0// 000000008358: D3AD00A4 0A030148
	ds_read_b32 v64, v5 offset:11776                           // 000000008360: D86C2E00 40000005
	ds_read_b32 v65, v5 offset:16128                           // 000000008368: D86C3F00 41000005
	ds_read_b32 v66, v5 offset:11784                           // 000000008370: D86C2E08 42000005
	ds_read_b32 v67, v5 offset:16136                           // 000000008378: D86C3F08 43000005
	ds_read_b32 v68, v5 offset:11808                           // 000000008380: D86C2E20 44000005
	ds_read_b32 v69, v5 offset:16160                           // 000000008388: D86C3F20 45000005
	ds_read_b32 v70, v5 offset:11816                           // 000000008390: D86C2E28 46000005
	ds_read_b32 v71, v5 offset:16168                           // 000000008398: D86C3F28 47000005
	s_waitcnt vmcnt(29)                                        // 0000000083A0: BF8C4F7D
	v_mfma_f32_16x16x128_f8f6f4 v[168:171], a[80:87], v[128:135], 0// 0000000083A4: D3AD00A8 0A030150
	buffer_load_dwordx4 a[16:19], v39, s[12:15], 0 offen       // 0000000083AC: E05C1000 80831027
	buffer_load_dwordx4 a[20:23], v39, s[12:15], 0 offen offset:1024// 0000000083B4: E05C1400 80831427
	buffer_load_dwordx4 a[24:27], v40, s[12:15], 0 offen       // 0000000083BC: E05C1000 80831828
	buffer_load_dwordx4 a[28:31], v40, s[12:15], 0 offen offset:1024// 0000000083C4: E05C1400 80831C28
	s_add_u32 s12, s78, s12                                    // 0000000083CC: 800C0C4E
	s_addc_u32 s13, 0, s13                                     // 0000000083D0: 820D0D80
	v_mfma_f32_16x16x128_f8f6f4 v[172:175], a[88:95], v[128:135], 0// 0000000083D4: D3AD00AC 0A030158
	v_mul_f32_dpp v46, v20, v28 row_newbcast:0 row_mask:0xf bank_mask:0xf// 0000000083DC: 0A5C38FA FF015014
	v_mov_b32_e32 v47, v46                                     // 0000000083E4: 7E5E032E
	v_pk_mul_f32 v[160:161], v[46:47], v[160:161]              // 0000000083E8: D3B140A0 1803412E
	v_pk_mul_f32 v[162:163], v[46:47], v[162:163]              // 0000000083F0: D3B140A2 1803452E
	v_pk_mul_f32 v[164:165], v[46:47], v[164:165]              // 0000000083F8: D3B140A4 1803492E
	v_pk_mul_f32 v[166:167], v[46:47], v[166:167]              // 000000008400: D3B140A6 18034D2E
	v_mul_f32_dpp v46, v20, v28 row_newbcast:1 row_mask:0xf bank_mask:0xf// 000000008408: 0A5C38FA FF015114
	v_mov_b32_e32 v47, v46                                     // 000000008410: 7E5E032E
	v_pk_mul_f32 v[168:169], v[46:47], v[168:169]              // 000000008414: D3B140A8 1803512E
	v_pk_mul_f32 v[170:171], v[46:47], v[170:171]              // 00000000841C: D3B140AA 1803552E
	v_pk_mul_f32 v[172:173], v[46:47], v[172:173]              // 000000008424: D3B140AC 1803592E
	v_pk_mul_f32 v[174:175], v[46:47], v[174:175]              // 00000000842C: D3B140AE 18035D2E
	s_waitcnt vmcnt(29)                                        // 000000008434: BF8C4F7D
	v_mfma_f32_16x16x128_f8f6f4 v[144:147], a[96:103], v[136:143], 0// 000000008438: D3AD0090 0A031160
	buffer_load_dwordx4 a[32:35], v37, s[12:15], 0 offen       // 000000008440: E05C1000 80832025
	buffer_load_dwordx4 a[36:39], v37, s[12:15], 0 offen offset:1024// 000000008448: E05C1400 80832425
	buffer_load_dwordx4 a[40:43], v38, s[12:15], 0 offen       // 000000008450: E05C1000 80832826
	buffer_load_dwordx4 a[44:47], v38, s[12:15], 0 offen offset:1024// 000000008458: E05C1400 80832C26
	v_mfma_f32_16x16x128_f8f6f4 v[148:151], a[104:111], v[136:143], 0// 000000008460: D3AD0094 0A031168
	ds_write_b64 v4, v[176:177] offset:29184                   // 000000008468: D89A7200 0000B004
	ds_write_b64 v4, v[178:179] offset:31360                   // 000000008470: D89A7A80 0000B204
	ds_write_b64 v4, v[180:181] offset:33536                   // 000000008478: D89A8300 0000B404
	ds_write_b64 v4, v[182:183] offset:35712                   // 000000008480: D89A8B80 0000B604
	s_waitcnt vmcnt(29)                                        // 000000008488: BF8C4F7D
	v_mfma_f32_16x16x128_f8f6f4 v[152:155], a[112:119], v[136:143], 0// 00000000848C: D3AD0098 0A031170
	buffer_load_dwordx4 a[48:51], v39, s[12:15], 0 offen       // 000000008494: E05C1000 80833027
	buffer_load_dwordx4 a[52:55], v39, s[12:15], 0 offen offset:1024// 00000000849C: E05C1400 80833427
	buffer_load_dwordx4 a[56:59], v40, s[12:15], 0 offen       // 0000000084A4: E05C1000 80833828
	buffer_load_dwordx4 a[60:63], v40, s[12:15], 0 offen offset:1024// 0000000084AC: E05C1400 80833C28
	v_mfma_f32_16x16x128_f8f6f4 v[156:159], a[120:127], v[136:143], 0// 0000000084B4: D3AD009C 0A031178
	v_mul_f32_dpp v46, v20, v29 row_newbcast:2 row_mask:0xf bank_mask:0xf// 0000000084BC: 0A5C3AFA FF015214
	v_mov_b32_e32 v47, v46                                     // 0000000084C4: 7E5E032E
	v_pk_fma_f32 v[160:161], v[144:145], v[46:47], v[160:161]  // 0000000084C8: D3B040A0 1E825D90
	v_pk_fma_f32 v[162:163], v[146:147], v[46:47], v[162:163]  // 0000000084D0: D3B040A2 1E8A5D92
	v_pk_fma_f32 v[164:165], v[148:149], v[46:47], v[164:165]  // 0000000084D8: D3B040A4 1E925D94
	v_pk_fma_f32 v[166:167], v[150:151], v[46:47], v[166:167]  // 0000000084E0: D3B040A6 1E9A5D96
	v_mul_f32_dpp v46, v20, v29 row_newbcast:3 row_mask:0xf bank_mask:0xf// 0000000084E8: 0A5C3AFA FF015314
	v_mov_b32_e32 v47, v46                                     // 0000000084F0: 7E5E032E
	v_pk_fma_f32 v[168:169], v[152:153], v[46:47], v[168:169]  // 0000000084F4: D3B040A8 1EA25D98
	v_pk_fma_f32 v[170:171], v[154:155], v[46:47], v[170:171]  // 0000000084FC: D3B040AA 1EAA5D9A
	v_pk_fma_f32 v[172:173], v[156:157], v[46:47], v[172:173]  // 000000008504: D3B040AC 1EB25D9C
	v_pk_fma_f32 v[174:175], v[158:159], v[46:47], v[174:175]  // 00000000850C: D3B040AE 1EBA5D9E
	s_add_u32 s60, 0x300, s80                                  // 000000008514: 803C50FF 00000300
	s_cmp_lt_u32 s60, s81                                      // 00000000851C: BF0A513C
	s_cselect_b32 s56, s56, 0                                  // 000000008520: 85388038
	s_cselect_b32 s78, s78, 0                                  // 000000008524: 854E804E
	s_cselect_b32 s79, s79, 0                                  // 000000008528: 854F804F
	s_add_u32 s12, s56, s12                                    // 00000000852C: 800C0C38
	s_addc_u32 s13, 0, s13                                     // 000000008530: 820D0D80
	s_add_u32 s16, s79, s16                                    // 000000008534: 8010104F
	s_addc_u32 s17, 0, s17                                     // 000000008538: 82111180
	v_mov_b32_e32 v46, v23                                     // 00000000853C: 7E5C0317
	v_mov_b32_e32 v47, v23                                     // 000000008540: 7E5E0317
	v_pk_mul_f32 v[160:161], v[46:47], v[160:161]              // 000000008544: D3B140A0 1803412E
	v_pk_mul_f32 v[162:163], v[46:47], v[162:163]              // 00000000854C: D3B140A2 1803452E
	v_pk_mul_f32 v[164:165], v[46:47], v[164:165]              // 000000008554: D3B140A4 1803492E
	v_pk_mul_f32 v[166:167], v[46:47], v[166:167]              // 00000000855C: D3B140A6 18034D2E
	v_pk_mul_f32 v[168:169], v[46:47], v[168:169]              // 000000008564: D3B140A8 1803512E
	v_pk_mul_f32 v[170:171], v[46:47], v[170:171]              // 00000000856C: D3B140AA 1803552E
	v_pk_mul_f32 v[172:173], v[46:47], v[172:173]              // 000000008574: D3B140AC 1803592E
	v_pk_mul_f32 v[174:175], v[46:47], v[174:175]              // 00000000857C: D3B140AE 18035D2E
	v_cvt_pk_bf16_f32 v160, v160, v161                         // 000000008584: D26800A0 000343A0
	v_cvt_pk_bf16_f32 v161, v162, v163                         // 00000000858C: D26800A1 000347A2
	v_cvt_pk_bf16_f32 v162, v164, v165                         // 000000008594: D26800A2 00034BA4
	v_cvt_pk_bf16_f32 v163, v166, v167                         // 00000000859C: D26800A3 00034FA6
	v_cvt_pk_bf16_f32 v164, v168, v169                         // 0000000085A4: D26800A4 000353A8
	v_cvt_pk_bf16_f32 v165, v170, v171                         // 0000000085AC: D26800A5 000357AA
	v_cvt_pk_bf16_f32 v166, v172, v173                         // 0000000085B4: D26800A6 00035BAC
	v_cvt_pk_bf16_f32 v167, v174, v175                         // 0000000085BC: D26800A7 00035FAE
	s_cmp_ge_u32 s80, 0x200                                    // 0000000085C4: BF09FF50 00000200
	s_cselect_b32 s59, 0x200, s59                              // 0000000085CC: 853B3BFF 00000200
	s_waitcnt lgkmcnt(0)                                       // 0000000085D4: BF8CC07F
	s_barrier                                                  // 0000000085D8: BF8A0000
	s_setvskip s20, 0                                          // 0000000085DC: BF108014
	global_atomic_pk_add_bf16 v80, v64, s[8:9]                 // 0000000085E0: DD488000 00084050
	s_setvskip 0, 0                                            // 0000000085E8: BF108080
	s_setvskip s20, 0                                          // 0000000085EC: BF108014
	global_atomic_pk_add_bf16 v80, v65, s[8:9] offset:256      // 0000000085F0: DD488100 00084150
	s_setvskip 0, 0                                            // 0000000085F8: BF108080
	s_setvskip s20, 1                                          // 0000000085FC: BF108114
	global_atomic_pk_add_bf16 v82, v66, s[8:9]                 // 000000008600: DD488000 00084252
	s_setvskip 0, 0                                            // 000000008608: BF108080
	s_setvskip s20, 1                                          // 00000000860C: BF108114
	global_atomic_pk_add_bf16 v82, v67, s[8:9] offset:256      // 000000008610: DD488100 00084352
	s_setvskip 0, 0                                            // 000000008618: BF108080
	s_setvskip s20, 2                                          // 00000000861C: BF108214
	global_atomic_pk_add_bf16 v84, v68, s[8:9]                 // 000000008620: DD488000 00084454
	s_setvskip 0, 0                                            // 000000008628: BF108080
	s_setvskip s20, 2                                          // 00000000862C: BF108214
	global_atomic_pk_add_bf16 v84, v69, s[8:9] offset:256      // 000000008630: DD488100 00084554
	s_setvskip 0, 0                                            // 000000008638: BF108080
	s_setvskip s20, 3                                          // 00000000863C: BF108314
	global_atomic_pk_add_bf16 v86, v70, s[8:9]                 // 000000008640: DD488000 00084656
	s_setvskip 0, 0                                            // 000000008648: BF108080
	s_setvskip s20, 3                                          // 00000000864C: BF108314
	global_atomic_pk_add_bf16 v86, v71, s[8:9] offset:256      // 000000008650: DD488100 00084756
	s_setvskip 0, 0                                            // 000000008658: BF108080
	s_add_u32 s8, s59, s8                                      // 00000000865C: 8008083B
	s_addc_u32 s9, 0, s9                                       // 000000008660: 82090980
	s_addk_i32 s80, 0x100                                      // 000000008664: B7500100
	s_cmp_lt_i32 s80, s81                                      // 000000008668: BF045150
	s_cbranch_scc0 label_0CED                                  // 00000000866C: BF84F6D1
	s_waitcnt vmcnt(29) lgkmcnt(0)                             // 000000008670: BF8C407D
	s_barrier                                                  // 000000008674: BF8A0000
	v_mfma_f32_16x16x128_f8f6f4 v[176:179], a[128:135], v[128:135], 0// 000000008678: D3AD00B0 0A030180
	buffer_load_dword v20, v6, s[16:19], 0 offen               // 000000008680: E0501000 80041406
	buffer_load_dwordx4 a[64:67], v37, s[12:15], 0 offen       // 000000008688: E05C1000 80834025
	buffer_load_dwordx4 a[68:71], v37, s[12:15], 0 offen offset:1024// 000000008690: E05C1400 80834425
	buffer_load_dwordx4 a[72:75], v38, s[12:15], 0 offen       // 000000008698: E05C1000 80834826
	buffer_load_dwordx4 a[76:79], v38, s[12:15], 0 offen offset:1024// 0000000086A0: E05C1400 80834C26
	v_mfma_f32_16x16x128_f8f6f4 v[180:183], a[136:143], v[128:135], 0// 0000000086A8: D3AD00B4 0A030188
	ds_read_b32 v64, v5 offset:29184                           // 0000000086B0: D86C7200 40000005
	ds_read_b32 v65, v5 offset:33536                           // 0000000086B8: D86C8300 41000005
	ds_read_b32 v66, v5 offset:29192                           // 0000000086C0: D86C7208 42000005
	ds_read_b32 v67, v5 offset:33544                           // 0000000086C8: D86C8308 43000005
	ds_read_b32 v68, v5 offset:29216                           // 0000000086D0: D86C7220 44000005
	ds_read_b32 v69, v5 offset:33568                           // 0000000086D8: D86C8320 45000005
	ds_read_b32 v70, v5 offset:29224                           // 0000000086E0: D86C7228 46000005
	ds_read_b32 v71, v5 offset:33576                           // 0000000086E8: D86C8328 47000005
	s_waitcnt vmcnt(29)                                        // 0000000086F0: BF8C4F7D
	v_mfma_f32_16x16x128_f8f6f4 v[184:187], a[144:151], v[128:135], 0// 0000000086F4: D3AD00B8 0A030190
	buffer_load_dwordx4 a[80:83], v39, s[12:15], 0 offen       // 0000000086FC: E05C1000 80835027
	buffer_load_dwordx4 a[84:87], v39, s[12:15], 0 offen offset:1024// 000000008704: E05C1400 80835427
	buffer_load_dwordx4 a[88:91], v40, s[12:15], 0 offen       // 00000000870C: E05C1000 80835828
	buffer_load_dwordx4 a[92:95], v40, s[12:15], 0 offen offset:1024// 000000008714: E05C1400 80835C28
	s_add_u32 s12, s78, s12                                    // 00000000871C: 800C0C4E
	s_addc_u32 s13, 0, s13                                     // 000000008720: 820D0D80
	v_mfma_f32_16x16x128_f8f6f4 v[188:191], a[152:159], v[128:135], 0// 000000008724: D3AD00BC 0A030198
	v_mul_f32_dpp v46, v21, v28 row_newbcast:0 row_mask:0xf bank_mask:0xf// 00000000872C: 0A5C38FA FF015015
	v_mov_b32_e32 v47, v46                                     // 000000008734: 7E5E032E
	v_pk_mul_f32 v[176:177], v[46:47], v[176:177]              // 000000008738: D3B140B0 1803612E
	v_pk_mul_f32 v[178:179], v[46:47], v[178:179]              // 000000008740: D3B140B2 1803652E
	v_pk_mul_f32 v[180:181], v[46:47], v[180:181]              // 000000008748: D3B140B4 1803692E
	v_pk_mul_f32 v[182:183], v[46:47], v[182:183]              // 000000008750: D3B140B6 18036D2E
	v_mul_f32_dpp v46, v21, v28 row_newbcast:1 row_mask:0xf bank_mask:0xf// 000000008758: 0A5C38FA FF015115
	v_mov_b32_e32 v47, v46                                     // 000000008760: 7E5E032E
	v_pk_mul_f32 v[184:185], v[46:47], v[184:185]              // 000000008764: D3B140B8 1803712E
	v_pk_mul_f32 v[186:187], v[46:47], v[186:187]              // 00000000876C: D3B140BA 1803752E
	v_pk_mul_f32 v[188:189], v[46:47], v[188:189]              // 000000008774: D3B140BC 1803792E
	v_pk_mul_f32 v[190:191], v[46:47], v[190:191]              // 00000000877C: D3B140BE 18037D2E
	s_waitcnt vmcnt(29)                                        // 000000008784: BF8C4F7D
	v_mfma_f32_16x16x128_f8f6f4 v[144:147], a[160:167], v[136:143], 0// 000000008788: D3AD0090 0A0311A0
	buffer_load_dwordx4 a[96:99], v37, s[12:15], 0 offen       // 000000008790: E05C1000 80836025
	buffer_load_dwordx4 a[100:103], v37, s[12:15], 0 offen offset:1024// 000000008798: E05C1400 80836425
	buffer_load_dwordx4 a[104:107], v38, s[12:15], 0 offen     // 0000000087A0: E05C1000 80836826
	buffer_load_dwordx4 a[108:111], v38, s[12:15], 0 offen offset:1024// 0000000087A8: E05C1400 80836C26
	v_mfma_f32_16x16x128_f8f6f4 v[148:151], a[168:175], v[136:143], 0// 0000000087B0: D3AD0094 0A0311A8
	ds_write_b64 v4, v[160:161] offset:11776                   // 0000000087B8: D89A2E00 0000A004
	ds_write_b64 v4, v[162:163] offset:13952                   // 0000000087C0: D89A3680 0000A204
	ds_write_b64 v4, v[164:165] offset:16128                   // 0000000087C8: D89A3F00 0000A404
	ds_write_b64 v4, v[166:167] offset:18304                   // 0000000087D0: D89A4780 0000A604
	s_waitcnt vmcnt(29)                                        // 0000000087D8: BF8C4F7D
	v_mfma_f32_16x16x128_f8f6f4 v[152:155], a[176:183], v[136:143], 0// 0000000087DC: D3AD0098 0A0311B0
	buffer_load_dwordx4 a[112:115], v39, s[12:15], 0 offen     // 0000000087E4: E05C1000 80837027
	buffer_load_dwordx4 a[116:119], v39, s[12:15], 0 offen offset:1024// 0000000087EC: E05C1400 80837427
	buffer_load_dwordx4 a[120:123], v40, s[12:15], 0 offen     // 0000000087F4: E05C1000 80837828
	buffer_load_dwordx4 a[124:127], v40, s[12:15], 0 offen offset:1024// 0000000087FC: E05C1400 80837C28
	v_mfma_f32_16x16x128_f8f6f4 v[156:159], a[184:191], v[136:143], 0// 000000008804: D3AD009C 0A0311B8
	v_mul_f32_dpp v46, v21, v29 row_newbcast:2 row_mask:0xf bank_mask:0xf// 00000000880C: 0A5C3AFA FF015215
	v_mov_b32_e32 v47, v46                                     // 000000008814: 7E5E032E
	v_pk_fma_f32 v[176:177], v[144:145], v[46:47], v[176:177]  // 000000008818: D3B040B0 1EC25D90
	v_pk_fma_f32 v[178:179], v[146:147], v[46:47], v[178:179]  // 000000008820: D3B040B2 1ECA5D92
	v_pk_fma_f32 v[180:181], v[148:149], v[46:47], v[180:181]  // 000000008828: D3B040B4 1ED25D94
	v_pk_fma_f32 v[182:183], v[150:151], v[46:47], v[182:183]  // 000000008830: D3B040B6 1EDA5D96
	v_mul_f32_dpp v46, v21, v29 row_newbcast:3 row_mask:0xf bank_mask:0xf// 000000008838: 0A5C3AFA FF015315
	v_mov_b32_e32 v47, v46                                     // 000000008840: 7E5E032E
	v_pk_fma_f32 v[184:185], v[152:153], v[46:47], v[184:185]  // 000000008844: D3B040B8 1EE25D98
	v_pk_fma_f32 v[186:187], v[154:155], v[46:47], v[186:187]  // 00000000884C: D3B040BA 1EEA5D9A
	v_pk_fma_f32 v[188:189], v[156:157], v[46:47], v[188:189]  // 000000008854: D3B040BC 1EF25D9C
	v_pk_fma_f32 v[190:191], v[158:159], v[46:47], v[190:191]  // 00000000885C: D3B040BE 1EFA5D9E
	s_add_u32 s60, 0x300, s80                                  // 000000008864: 803C50FF 00000300
	s_cmp_lt_u32 s60, s81                                      // 00000000886C: BF0A513C
	s_cselect_b32 s56, s56, 0                                  // 000000008870: 85388038
	s_cselect_b32 s78, s78, 0                                  // 000000008874: 854E804E
	s_cselect_b32 s79, s79, 0                                  // 000000008878: 854F804F
	s_add_u32 s12, s56, s12                                    // 00000000887C: 800C0C38
	s_addc_u32 s13, 0, s13                                     // 000000008880: 820D0D80
	s_add_u32 s16, s79, s16                                    // 000000008884: 8010104F
	s_addc_u32 s17, 0, s17                                     // 000000008888: 82111180
	v_mov_b32_e32 v46, v23                                     // 00000000888C: 7E5C0317
	v_mov_b32_e32 v47, v23                                     // 000000008890: 7E5E0317
	v_pk_mul_f32 v[176:177], v[46:47], v[176:177]              // 000000008894: D3B140B0 1803612E
	v_pk_mul_f32 v[178:179], v[46:47], v[178:179]              // 00000000889C: D3B140B2 1803652E
	v_pk_mul_f32 v[180:181], v[46:47], v[180:181]              // 0000000088A4: D3B140B4 1803692E
	v_pk_mul_f32 v[182:183], v[46:47], v[182:183]              // 0000000088AC: D3B140B6 18036D2E
	v_pk_mul_f32 v[184:185], v[46:47], v[184:185]              // 0000000088B4: D3B140B8 1803712E
	v_pk_mul_f32 v[186:187], v[46:47], v[186:187]              // 0000000088BC: D3B140BA 1803752E
	v_pk_mul_f32 v[188:189], v[46:47], v[188:189]              // 0000000088C4: D3B140BC 1803792E
	v_pk_mul_f32 v[190:191], v[46:47], v[190:191]              // 0000000088CC: D3B140BE 18037D2E
	v_cvt_pk_bf16_f32 v176, v176, v177                         // 0000000088D4: D26800B0 000363B0
	v_cvt_pk_bf16_f32 v177, v178, v179                         // 0000000088DC: D26800B1 000367B2
	v_cvt_pk_bf16_f32 v178, v180, v181                         // 0000000088E4: D26800B2 00036BB4
	v_cvt_pk_bf16_f32 v179, v182, v183                         // 0000000088EC: D26800B3 00036FB6
	v_cvt_pk_bf16_f32 v180, v184, v185                         // 0000000088F4: D26800B4 000373B8
	v_cvt_pk_bf16_f32 v181, v186, v187                         // 0000000088FC: D26800B5 000377BA
	v_cvt_pk_bf16_f32 v182, v188, v189                         // 000000008904: D26800B6 00037BBC
	v_cvt_pk_bf16_f32 v183, v190, v191                         // 00000000890C: D26800B7 00037FBE
	s_cmp_ge_u32 s80, 0x200                                    // 000000008914: BF09FF50 00000200
	s_cselect_b32 s59, 0x200, s59                              // 00000000891C: 853B3BFF 00000200
	s_waitcnt lgkmcnt(0)                                       // 000000008924: BF8CC07F
	s_barrier                                                  // 000000008928: BF8A0000
	s_setvskip s20, 0                                          // 00000000892C: BF108014
	global_atomic_pk_add_bf16 v80, v64, s[8:9]                 // 000000008930: DD488000 00084050
	s_setvskip 0, 0                                            // 000000008938: BF108080
	s_setvskip s20, 0                                          // 00000000893C: BF108014
	global_atomic_pk_add_bf16 v80, v65, s[8:9] offset:256      // 000000008940: DD488100 00084150
	s_setvskip 0, 0                                            // 000000008948: BF108080
	s_setvskip s20, 1                                          // 00000000894C: BF108114
	global_atomic_pk_add_bf16 v82, v66, s[8:9]                 // 000000008950: DD488000 00084252
	s_setvskip 0, 0                                            // 000000008958: BF108080
	s_setvskip s20, 1                                          // 00000000895C: BF108114
	global_atomic_pk_add_bf16 v82, v67, s[8:9] offset:256      // 000000008960: DD488100 00084352
	s_setvskip 0, 0                                            // 000000008968: BF108080
	s_setvskip s20, 2                                          // 00000000896C: BF108214
	global_atomic_pk_add_bf16 v84, v68, s[8:9]                 // 000000008970: DD488000 00084454
	s_setvskip 0, 0                                            // 000000008978: BF108080
	s_setvskip s20, 2                                          // 00000000897C: BF108214
	global_atomic_pk_add_bf16 v84, v69, s[8:9] offset:256      // 000000008980: DD488100 00084554
	s_setvskip 0, 0                                            // 000000008988: BF108080
	s_setvskip s20, 3                                          // 00000000898C: BF108314
	global_atomic_pk_add_bf16 v86, v70, s[8:9]                 // 000000008990: DD488000 00084656
	s_setvskip 0, 0                                            // 000000008998: BF108080
	s_setvskip s20, 3                                          // 00000000899C: BF108314
	global_atomic_pk_add_bf16 v86, v71, s[8:9] offset:256      // 0000000089A0: DD488100 00084756
	s_setvskip 0, 0                                            // 0000000089A8: BF108080
	s_add_u32 s8, s59, s8                                      // 0000000089AC: 8008083B
	s_addc_u32 s9, 0, s9                                       // 0000000089B0: 82090980
	s_addk_i32 s80, 0x100                                      // 0000000089B4: B7500100
	s_cmp_lt_i32 s80, s81                                      // 0000000089B8: BF045150
	s_cbranch_scc0 label_0CED                                  // 0000000089BC: BF84F5FD
	s_branch label_11F8                                        // 0000000089C0: BF82FB07

00000000000089c4 <label_16F1>:
	s_cmp_ge_u32 s59, 0                                        // 0000000089C4: BF09803B
	s_cselect_b32 s59, 0x200, s59                              // 0000000089C8: 853B3BFF 00000200
	s_waitcnt lgkmcnt(0)                                       // 0000000089D0: BF8CC07F
	s_barrier                                                  // 0000000089D4: BF8A0000
	s_cmp_eq_u32 s64, 0x100                                    // 0000000089D8: BF06FF40 00000100
	s_cbranch_scc0 label_1735                                  // 0000000089E0: BF84003C
	ds_write_b64 v4, v[160:161] offset:11776                   // 0000000089E4: D89A2E00 0000A004
	ds_write_b64 v4, v[162:163] offset:13952                   // 0000000089EC: D89A3680 0000A204
	ds_write_b64 v4, v[164:165] offset:16128                   // 0000000089F4: D89A3F00 0000A404
	ds_write_b64 v4, v[166:167] offset:18304                   // 0000000089FC: D89A4780 0000A604
	s_waitcnt lgkmcnt(0)                                       // 000000008A04: BF8CC07F
	s_barrier                                                  // 000000008A08: BF8A0000
	ds_read_b32 v64, v5 offset:11776                           // 000000008A0C: D86C2E00 40000005
	ds_read_b32 v65, v5 offset:16128                           // 000000008A14: D86C3F00 41000005
	ds_read_b32 v66, v5 offset:11784                           // 000000008A1C: D86C2E08 42000005
	ds_read_b32 v67, v5 offset:16136                           // 000000008A24: D86C3F08 43000005
	ds_read_b32 v68, v5 offset:11808                           // 000000008A2C: D86C2E20 44000005
	ds_read_b32 v69, v5 offset:16160                           // 000000008A34: D86C3F20 45000005
	ds_read_b32 v70, v5 offset:11816                           // 000000008A3C: D86C2E28 46000005
	ds_read_b32 v71, v5 offset:16168                           // 000000008A44: D86C3F28 47000005
	s_waitcnt lgkmcnt(0)                                       // 000000008A4C: BF8CC07F
	s_setvskip s20, 0                                          // 000000008A50: BF108014
	global_atomic_pk_add_bf16 v80, v64, s[8:9]                 // 000000008A54: DD488000 00084050
	s_setvskip 0, 0                                            // 000000008A5C: BF108080
	s_setvskip s20, 0                                          // 000000008A60: BF108014
	global_atomic_pk_add_bf16 v80, v65, s[8:9] offset:256      // 000000008A64: DD488100 00084150
	s_setvskip 0, 0                                            // 000000008A6C: BF108080
	s_setvskip s20, 1                                          // 000000008A70: BF108114
	global_atomic_pk_add_bf16 v82, v66, s[8:9]                 // 000000008A74: DD488000 00084252
	s_setvskip 0, 0                                            // 000000008A7C: BF108080
	s_setvskip s20, 1                                          // 000000008A80: BF108114
	global_atomic_pk_add_bf16 v82, v67, s[8:9] offset:256      // 000000008A84: DD488100 00084352
	s_setvskip 0, 0                                            // 000000008A8C: BF108080
	s_setvskip s20, 2                                          // 000000008A90: BF108214
	global_atomic_pk_add_bf16 v84, v68, s[8:9]                 // 000000008A94: DD488000 00084454
	s_setvskip 0, 0                                            // 000000008A9C: BF108080
	s_setvskip s20, 2                                          // 000000008AA0: BF108214
	global_atomic_pk_add_bf16 v84, v69, s[8:9] offset:256      // 000000008AA4: DD488100 00084554
	s_setvskip 0, 0                                            // 000000008AAC: BF108080
	s_setvskip s20, 3                                          // 000000008AB0: BF108314
	global_atomic_pk_add_bf16 v86, v70, s[8:9]                 // 000000008AB4: DD488000 00084656
	s_setvskip 0, 0                                            // 000000008ABC: BF108080
	s_setvskip s20, 3                                          // 000000008AC0: BF108314
	global_atomic_pk_add_bf16 v86, v71, s[8:9] offset:256      // 000000008AC4: DD488100 00084756
	s_setvskip 0, 0                                            // 000000008ACC: BF108080
	s_branch label_17A3                                        // 000000008AD0: BF82006E

0000000000008ad4 <label_1735>:
	ds_read_b32 v64, v5 offset:11776                           // 000000008AD4: D86C2E00 40000005
	ds_read_b32 v65, v5 offset:16128                           // 000000008ADC: D86C3F00 41000005
	ds_read_b32 v66, v5 offset:11784                           // 000000008AE4: D86C2E08 42000005
	ds_read_b32 v67, v5 offset:16136                           // 000000008AEC: D86C3F08 43000005
	ds_read_b32 v68, v5 offset:11808                           // 000000008AF4: D86C2E20 44000005
	ds_read_b32 v69, v5 offset:16160                           // 000000008AFC: D86C3F20 45000005
	ds_read_b32 v70, v5 offset:11816                           // 000000008B04: D86C2E28 46000005
	ds_read_b32 v71, v5 offset:16168                           // 000000008B0C: D86C3F28 47000005
	s_waitcnt lgkmcnt(0)                                       // 000000008B14: BF8CC07F
	s_setvskip s20, 0                                          // 000000008B18: BF108014
	global_atomic_pk_add_bf16 v80, v64, s[8:9]                 // 000000008B1C: DD488000 00084050
	s_setvskip 0, 0                                            // 000000008B24: BF108080
	s_setvskip s20, 0                                          // 000000008B28: BF108014
	global_atomic_pk_add_bf16 v80, v65, s[8:9] offset:256      // 000000008B2C: DD488100 00084150
	s_setvskip 0, 0                                            // 000000008B34: BF108080
	s_setvskip s20, 1                                          // 000000008B38: BF108114
	global_atomic_pk_add_bf16 v82, v66, s[8:9]                 // 000000008B3C: DD488000 00084252
	s_setvskip 0, 0                                            // 000000008B44: BF108080
	s_setvskip s20, 1                                          // 000000008B48: BF108114
	global_atomic_pk_add_bf16 v82, v67, s[8:9] offset:256      // 000000008B4C: DD488100 00084352
	s_setvskip 0, 0                                            // 000000008B54: BF108080
	s_setvskip s20, 2                                          // 000000008B58: BF108214
	global_atomic_pk_add_bf16 v84, v68, s[8:9]                 // 000000008B5C: DD488000 00084454
	s_setvskip 0, 0                                            // 000000008B64: BF108080
	s_setvskip s20, 2                                          // 000000008B68: BF108214
	global_atomic_pk_add_bf16 v84, v69, s[8:9] offset:256      // 000000008B6C: DD488100 00084554
	s_setvskip 0, 0                                            // 000000008B74: BF108080
	s_setvskip s20, 3                                          // 000000008B78: BF108314
	global_atomic_pk_add_bf16 v86, v70, s[8:9]                 // 000000008B7C: DD488000 00084656
	s_setvskip 0, 0                                            // 000000008B84: BF108080
	s_setvskip s20, 3                                          // 000000008B88: BF108314
	global_atomic_pk_add_bf16 v86, v71, s[8:9] offset:256      // 000000008B8C: DD488100 00084756
	s_setvskip 0, 0                                            // 000000008B94: BF108080
	s_add_u32 s8, s59, s8                                      // 000000008B98: 8008083B
	s_addc_u32 s9, 0, s9                                       // 000000008B9C: 82090980
	ds_write_b64 v4, v[176:177] offset:29184                   // 000000008BA0: D89A7200 0000B004
	ds_write_b64 v4, v[178:179] offset:31360                   // 000000008BA8: D89A7A80 0000B204
	ds_write_b64 v4, v[180:181] offset:33536                   // 000000008BB0: D89A8300 0000B404
	ds_write_b64 v4, v[182:183] offset:35712                   // 000000008BB8: D89A8B80 0000B604
	s_waitcnt lgkmcnt(0)                                       // 000000008BC0: BF8CC07F
	s_barrier                                                  // 000000008BC4: BF8A0000
	ds_read_b32 v64, v5 offset:29184                           // 000000008BC8: D86C7200 40000005
	ds_read_b32 v65, v5 offset:33536                           // 000000008BD0: D86C8300 41000005
	ds_read_b32 v66, v5 offset:29192                           // 000000008BD8: D86C7208 42000005
	ds_read_b32 v67, v5 offset:33544                           // 000000008BE0: D86C8308 43000005
	ds_read_b32 v68, v5 offset:29216                           // 000000008BE8: D86C7220 44000005
	ds_read_b32 v69, v5 offset:33568                           // 000000008BF0: D86C8320 45000005
	ds_read_b32 v70, v5 offset:29224                           // 000000008BF8: D86C7228 46000005
	ds_read_b32 v71, v5 offset:33576                           // 000000008C00: D86C8328 47000005
	s_waitcnt lgkmcnt(0)                                       // 000000008C08: BF8CC07F
	s_setvskip s20, 0                                          // 000000008C0C: BF108014
	global_atomic_pk_add_bf16 v80, v64, s[8:9]                 // 000000008C10: DD488000 00084050
	s_setvskip 0, 0                                            // 000000008C18: BF108080
	s_setvskip s20, 0                                          // 000000008C1C: BF108014
	global_atomic_pk_add_bf16 v80, v65, s[8:9] offset:256      // 000000008C20: DD488100 00084150
	s_setvskip 0, 0                                            // 000000008C28: BF108080
	s_setvskip s20, 1                                          // 000000008C2C: BF108114
	global_atomic_pk_add_bf16 v82, v66, s[8:9]                 // 000000008C30: DD488000 00084252
	s_setvskip 0, 0                                            // 000000008C38: BF108080
	s_setvskip s20, 1                                          // 000000008C3C: BF108114
	global_atomic_pk_add_bf16 v82, v67, s[8:9] offset:256      // 000000008C40: DD488100 00084352
	s_setvskip 0, 0                                            // 000000008C48: BF108080
	s_setvskip s20, 2                                          // 000000008C4C: BF108214
	global_atomic_pk_add_bf16 v84, v68, s[8:9]                 // 000000008C50: DD488000 00084454
	s_setvskip 0, 0                                            // 000000008C58: BF108080
	s_setvskip s20, 2                                          // 000000008C5C: BF108214
	global_atomic_pk_add_bf16 v84, v69, s[8:9] offset:256      // 000000008C60: DD488100 00084554
	s_setvskip 0, 0                                            // 000000008C68: BF108080
	s_setvskip s20, 3                                          // 000000008C6C: BF108314
	global_atomic_pk_add_bf16 v86, v70, s[8:9]                 // 000000008C70: DD488000 00084656
	s_setvskip 0, 0                                            // 000000008C78: BF108080
	s_setvskip s20, 3                                          // 000000008C7C: BF108314
	global_atomic_pk_add_bf16 v86, v71, s[8:9] offset:256      // 000000008C80: DD488100 00084756
	s_setvskip 0, 0                                            // 000000008C88: BF108080

0000000000008c8c <label_17A3>:
	s_waitcnt vmcnt(0) expcnt(0) lgkmcnt(0)                    // 000000008C8C: BF8C0000
	s_endpgm                                                   // 000000008C90: BF810000
